;; amdgpu-corpus repo=ROCm/aiter kind=harvested arch=n/a opt=n/a

/root/src/amdgpu-assembly/repos/ROCm__aiter/hsa/gfx950/bf16gemm/bf16gemm_fp32bf16_tn_32x64_pf3_splitk.co:	file format elf64-amdgpu

Disassembly of section .text:

0000000000002900 <_ZN5aiter37bf16gemm_fp32bf16_tn_32x64_pf3_splitkE>:
	s_mov_b32 s49, s4                                          // 000000002900: BEB10004
	s_and_b32 s1, s1, 0xffff                                   // 000000002904: 8601FF01 0000FFFF
	s_load_dword s25, s[0:1], 0xe0                             // 00000000290C: C0020640 000000E0
	s_load_dword s26, s[0:1], 0xf0                             // 000000002914: C0020680 000000F0
	s_load_dword s27, s[0:1], 0x100                            // 00000000291C: C00206C0 00000100
	s_load_dword s28, s[0:1], 0xa0                             // 000000002924: C0020700 000000A0
	s_load_dword s29, s[0:1], 0xc0                             // 00000000292C: C0020740 000000C0
	s_load_dword s30, s[0:1], 0x80                             // 000000002934: C0020780 00000080
	s_load_dword s20, s[0:1], 0x40                             // 00000000293C: C0020500 00000040
	s_load_dword s21, s[0:1], 0x50                             // 000000002944: C0020540 00000050
	s_load_dwordx2 s[4:5], s[0:1], 0x20                        // 00000000294C: C0060100 00000020
	s_load_dwordx2 s[8:9], s[0:1], 0x30                        // 000000002954: C0060200 00000030
	s_load_dwordx2 s[12:13], s[0:1], 0x10                      // 00000000295C: C0060300 00000010
	s_load_dwordx2 s[16:17], s[0:1], 0x0                       // 000000002964: C0060400 00000000
	s_load_dword s48, s[0:1], 0x110                            // 00000000296C: C0020C00 00000110
	s_load_dword s50, s[0:1], 0x120                            // 000000002974: C0020C80 00000120
	s_load_dwordx2 s[36:37], s[0:1], 0x130                     // 00000000297C: C0060900 00000130
	s_load_dword s57, s[0:1], 0x140                            // 000000002984: C0020E40 00000140
	v_lshrrev_b32_e32 v1, 10, v0                               // 00000000298C: 2002008A
	v_lshrrev_b32_e32 v2, 10, v1                               // 000000002990: 2004028A
	v_and_b32_e32 v2, 0x3ff, v2                                // 000000002994: 260404FF 000003FF
	v_and_b32_e32 v1, 0x3ff, v1                                // 00000000299C: 260202FF 000003FF
	v_and_b32_e32 v0, 0x3ff, v0                                // 0000000029A4: 260000FF 000003FF
	v_lshrrev_b32_e32 v3, 6, v0                                // 0000000029AC: 20060086
	v_and_b32_e32 v0, 63, v0                                   // 0000000029B0: 260000BF
	s_mov_b32 s22, s2                                          // 0000000029B4: BE960002
	s_mov_b32 s23, s3                                          // 0000000029B8: BE970003
	v_readfirstlane_b32 s24, v3                                // 0000000029BC: 7E300503
	s_waitcnt lgkmcnt(0)                                       // 0000000029C0: BF8CC07F
	s_mov_b32 s18, -16                                         // 0000000029C4: BE9200D0
	s_mov_b32 s14, -16                                         // 0000000029C8: BE8E00D0
	s_mov_b32 s10, -16                                         // 0000000029CC: BE8A00D0
	s_mov_b32 s6, -16                                          // 0000000029D0: BE8600D0
	s_mov_b32 s38, -16                                         // 0000000029D4: BEA600D0
	s_mov_b32 s19, 0x20000                                     // 0000000029D8: BE9300FF 00020000
	s_mov_b32 s15, 0x20000                                     // 0000000029E0: BE8F00FF 00020000
	s_mov_b32 s11, 0x20000                                     // 0000000029E8: BE8B00FF 00020000
	s_mov_b32 s7, 0x20000                                      // 0000000029F0: BE8700FF 00020000
	s_mov_b32 s39, 0x20000                                     // 0000000029F8: BEA700FF 00020000
	s_and_b32 s17, s17, 0xffff                                 // 000000002A00: 8611FF11 0000FFFF
	s_and_b32 s13, s13, 0xffff                                 // 000000002A08: 860DFF0D 0000FFFF
	s_and_b32 s9, s9, 0xffff                                   // 000000002A10: 8609FF09 0000FFFF
	s_and_b32 s5, s5, 0xffff                                   // 000000002A18: 8605FF05 0000FFFF
	s_and_b32 s37, s37, 0xffff                                 // 000000002A20: 8625FF25 0000FFFF
	s_or_b32 s17, s17, 0x40000                                 // 000000002A28: 8711FF11 00040000
	s_or_b32 s13, s13, 0x40000                                 // 000000002A30: 870DFF0D 00040000
	s_or_b32 s9, s9, 0x40000                                   // 000000002A38: 8709FF09 00040000
	s_or_b32 s5, s5, 0x40000                                   // 000000002A40: 8705FF05 00040000
	s_or_b32 s37, s37, 0x40000                                 // 000000002A48: 8725FF25 00040000
	s_mov_b32 s35, 0x7060302                                   // 000000002A50: BEA300FF 07060302
	v_mov_b32_e32 v9, 0xffff0000                               // 000000002A58: 7E1202FF FFFF0000
	v_mov_b32_e32 v10, 0x7fff0000                              // 000000002A60: 7E1402FF 7FFF0000
	v_mov_b32_e32 v11, 0x7fff                                  // 000000002A68: 7E1602FF 00007FFF
	s_mul_i32 s31, s28, s25                                    // 000000002A70: 921F191C
	s_mov_b32 s6, s31                                          // 000000002A74: BE86001F
	s_mov_b32 s40, 0x80                                        // 000000002A78: BEA800FF 00000080
	v_lshrrev_b32_e32 v4, 5, v0                                // 000000002A80: 20080085
	v_lshlrev_b32_e32 v4, 2, v4                                // 000000002A84: 24080882
	v_mul_lo_u32 v15, v4, s28                                  // 000000002A88: D285000F 00003904
	v_and_b32_e32 v4, 31, v0                                   // 000000002A90: 2608009F
	v_lshlrev_b32_e32 v4, 2, v4                                // 000000002A94: 24080882
	v_add_u32_e32 v15, v15, v4                                 // 000000002A98: 681E090F
	s_mul_i32 s31, 8, s28                                      // 000000002A9C: 921F1C88
	v_add_u32_e64 v16, v15, s31                                // 000000002AA0: D1340010 00003F0F
	v_add_u32_e64 v17, v16, s31                                // 000000002AA8: D1340011 00003F10
	v_add_u32_e64 v18, v17, s31                                // 000000002AB0: D1340012 00003F11
	s_mul_i32 s31, s23, 32                                     // 000000002AB8: 921FA017
	s_add_u32 s31, s31, s24                                    // 000000002ABC: 801F181F
	s_mul_i32 s32, s31, s28                                    // 000000002AC0: 92201C1F
	v_add_u32_e64 v15, v15, s32                                // 000000002AC4: D134000F 0000410F
	v_add_u32_e64 v16, v16, s32                                // 000000002ACC: D1340010 00004110
	v_add_u32_e64 v17, v17, s32                                // 000000002AD4: D1340011 00004111
	v_add_u32_e64 v18, v18, s32                                // 000000002ADC: D1340012 00004112
	v_lshrrev_b32_e32 v4, 4, v0                                // 000000002AE4: 20080084
	v_lshlrev_b32_e32 v5, 2, v4                                // 000000002AE8: 240A0882
	v_and_b32_e32 v4, 15, v0                                   // 000000002AEC: 2608008F
	v_lshrrev_b32_e32 v6, 2, v4                                // 000000002AF0: 200C0882
	v_lshlrev_b32_e32 v6, 5, v6                                // 000000002AF4: 240C0C85
	v_add_u32_e32 v5, v6, v5                                   // 000000002AF8: 680A0B06
	v_and_b32_e32 v4, 3, v0                                    // 000000002AFC: 26080083
	v_mul_u32_u24_e32 v6, 0x108, v4                            // 000000002B00: 100C08FF 00000108
	v_add_u32_e32 v5, v6, v5                                   // 000000002B08: 680A0B06
	v_lshlrev_b32_e32 v19, 2, v5                               // 000000002B0C: 24260A82
	s_mul_i32 s31, s24, 0x420                                  // 000000002B10: 921FFF18 00000420
	s_add_u32 s42, 0, s31                                      // 000000002B18: 802A1F80
	s_add_u32 s43, 0x1080, s42                                 // 000000002B1C: 802B2AFF 00001080
	s_add_u32 s44, 0x1080, s43                                 // 000000002B24: 802C2BFF 00001080
	s_mul_i32 s31, s29, s26                                    // 000000002B2C: 921F1A1D
	s_mov_b32 s10, s31                                         // 000000002B30: BE8A001F
	s_mov_b32 s41, 0x80                                        // 000000002B34: BEA900FF 00000080
	v_lshrrev_b32_e32 v4, 5, v0                                // 000000002B3C: 20080085
	v_lshlrev_b32_e32 v4, 2, v4                                // 000000002B40: 24080882
	v_mul_lo_u32 v20, v4, s29                                  // 000000002B44: D2850014 00003B04
	v_and_b32_e32 v4, 31, v0                                   // 000000002B4C: 2608009F
	v_lshlrev_b32_e32 v4, 2, v4                                // 000000002B50: 24080882
	v_add_u32_e32 v20, v20, v4                                 // 000000002B54: 68280914
	s_mul_i32 s31, 8, s29                                      // 000000002B58: 921F1D88
	v_add_u32_e64 v21, v20, s31                                // 000000002B5C: D1340015 00003F14
	v_add_u32_e64 v22, v21, s31                                // 000000002B64: D1340016 00003F15
	v_add_u32_e64 v23, v22, s31                                // 000000002B6C: D1340017 00003F16
	v_add_u32_e64 v24, v23, s31                                // 000000002B74: D1340018 00003F17
	v_add_u32_e64 v25, v24, s31                                // 000000002B7C: D1340019 00003F18
	v_add_u32_e64 v26, v25, s31                                // 000000002B84: D134001A 00003F19
	v_add_u32_e64 v27, v26, s31                                // 000000002B8C: D134001B 00003F1A
	s_mul_i32 s31, s22, 64                                     // 000000002B94: 921FC016
	s_add_u32 s31, s31, s24                                    // 000000002B98: 801F181F
	s_mul_i32 s32, s31, s29                                    // 000000002B9C: 92201D1F
	v_add_u32_e64 v20, v20, s32                                // 000000002BA0: D1340014 00004114
	v_add_u32_e64 v21, v21, s32                                // 000000002BA8: D1340015 00004115
	v_add_u32_e64 v22, v22, s32                                // 000000002BB0: D1340016 00004116
	v_add_u32_e64 v23, v23, s32                                // 000000002BB8: D1340017 00004117
	v_add_u32_e64 v24, v24, s32                                // 000000002BC0: D1340018 00004118
	v_add_u32_e64 v25, v25, s32                                // 000000002BC8: D1340019 00004119
	v_add_u32_e64 v26, v26, s32                                // 000000002BD0: D134001A 0000411A
	v_add_u32_e64 v27, v27, s32                                // 000000002BD8: D134001B 0000411B
	s_cmp_le_u32 s48, 1                                        // 000000002BE0: BF0B8130
	s_cbranch_scc1 label_00FB                                  // 000000002BE4: BF850041
	s_lshr_b32 s32, s27, 6                                     // 000000002BE8: 8F20861B
	v_cvt_f32_u32_e32 v4, s48                                  // 000000002BEC: 7E080C30
	s_sub_i32 s31, 0, s48                                      // 000000002BF0: 819F3080
	v_rcp_iflag_f32_e32 v4, v4                                 // 000000002BF4: 7E084704
	s_nop 0                                                    // 000000002BF8: BF800000
	v_mul_f32_e32 v4, 0x4f7ffffe, v4                           // 000000002BFC: 0A0808FF 4F7FFFFE
	v_cvt_u32_f32_e32 v4, v4                                   // 000000002C04: 7E080F04
	v_mul_lo_u32 v5, s31, v4                                   // 000000002C08: D2850005 0002081F
	v_mul_hi_u32 v5, v4, v5                                    // 000000002C10: D2860005 00020B04
	v_add_u32_e32 v4, v4, v5                                   // 000000002C18: 68080B04
	v_mul_hi_u32 v4, s32, v4                                   // 000000002C1C: D2860004 00020820
	v_mul_lo_u32 v5, v4, s48                                   // 000000002C24: D2850005 00006104
	v_sub_u32_e32 v7, s32, v5                                  // 000000002C2C: 6A0E0A20
	v_add_u32_e32 v6, 1, v4                                    // 000000002C30: 680C0881
	v_cmp_le_u32_e32 vcc, s48, v7                              // 000000002C34: 7D960E30
	v_subrev_u32_e32 v5, s48, v7                               // 000000002C38: 6C0A0E30
	s_nop 0                                                    // 000000002C3C: BF800000
	v_cndmask_b32_e32 v4, v4, v6, vcc                          // 000000002C40: 00080D04
	v_cndmask_b32_e32 v7, v7, v5, vcc                          // 000000002C44: 000E0B07
	v_add_u32_e32 v5, 1, v4                                    // 000000002C48: 680A0881
	v_cmp_le_u32_e32 vcc, s48, v7                              // 000000002C4C: 7D960E30
	s_nop 1                                                    // 000000002C50: BF800001
	v_cndmask_b32_e32 v7, v4, v5, vcc                          // 000000002C54: 000E0B04
	s_nop 3                                                    // 000000002C58: BF800003
	v_readfirstlane_b32 s32, v7                                // 000000002C5C: 7E400507
	s_nop 3                                                    // 000000002C60: BF800003
	s_mul_i32 s32, s32, 64                                     // 000000002C64: 9220C020
	s_mul_i32 s31, s49, s32                                    // 000000002C68: 921F2031
	s_sub_i32 s52, s27, s31                                    // 000000002C6C: 81B41F1B
	s_sub_i32 s31, s48, 1                                      // 000000002C70: 819F8130
	s_cmp_eq_i32 s49, s31                                      // 000000002C74: BF001F31
	s_cselect_b32 s27, s52, s32                                // 000000002C78: 851B2034
	s_mul_i32 s31, s32, 2                                      // 000000002C7C: 921F8220
	s_mul_i32 s31, s31, s49                                    // 000000002C80: 921F311F
	v_add_u32_e64 v15, v15, s31                                // 000000002C84: D134000F 00003F0F
	v_add_u32_e64 v16, v16, s31                                // 000000002C8C: D1340010 00003F10
	v_add_u32_e64 v17, v17, s31                                // 000000002C94: D1340011 00003F11
	v_add_u32_e64 v18, v18, s31                                // 000000002C9C: D1340012 00003F12
	s_mul_i32 s31, s32, 2                                      // 000000002CA4: 921F8220
	s_mul_i32 s31, s31, s49                                    // 000000002CA8: 921F311F
	v_add_u32_e64 v20, v20, s31                                // 000000002CAC: D1340014 00003F14
	v_add_u32_e64 v21, v21, s31                                // 000000002CB4: D1340015 00003F15
	v_add_u32_e64 v22, v22, s31                                // 000000002CBC: D1340016 00003F16
	v_add_u32_e64 v23, v23, s31                                // 000000002CC4: D1340017 00003F17
	v_add_u32_e64 v24, v24, s31                                // 000000002CCC: D1340018 00003F18
	v_add_u32_e64 v25, v25, s31                                // 000000002CD4: D1340019 00003F19
	v_add_u32_e64 v26, v26, s31                                // 000000002CDC: D134001A 00003F1A
	v_add_u32_e64 v27, v27, s31                                // 000000002CE4: D134001B 00003F1B

0000000000002cec <label_00FB>:
	v_lshrrev_b32_e32 v4, 4, v0                                // 000000002CEC: 20080084
	v_lshlrev_b32_e32 v5, 2, v4                                // 000000002CF0: 240A0882
	v_and_b32_e32 v4, 15, v0                                   // 000000002CF4: 2608008F
	v_lshrrev_b32_e32 v6, 2, v4                                // 000000002CF8: 200C0882
	v_lshlrev_b32_e32 v6, 5, v6                                // 000000002CFC: 240C0C85
	v_add_u32_e32 v5, v6, v5                                   // 000000002D00: 680A0B06
	v_and_b32_e32 v4, 3, v0                                    // 000000002D04: 26080083
	v_mul_u32_u24_e32 v6, 0x208, v4                            // 000000002D08: 100C08FF 00000208
	v_add_u32_e32 v5, v6, v5                                   // 000000002D10: 680A0B06
	v_lshlrev_b32_e32 v28, 2, v5                               // 000000002D14: 24380A82
	s_mul_i32 s31, s24, 0x200                                  // 000000002D18: 921FFF18 00000200
	v_add_u32_e32 v28, s31, v28                                // 000000002D20: 6838381F
	s_mul_i32 s31, s24, 0x820                                  // 000000002D24: 921FFF18 00000820
	s_add_u32 s45, 0x3180, s31                                 // 000000002D2C: 802D1FFF 00003180
	s_add_u32 s46, 0x2080, s45                                 // 000000002D34: 802E2DFF 00002080
	s_add_u32 s47, 0x2080, s46                                 // 000000002D3C: 802F2EFF 00002080
	s_mul_i32 s31, s30, s25                                    // 000000002D44: 921F191E
	s_mov_b32 s18, s31                                         // 000000002D48: BE92001F
	s_cmp_lt_u32 s50, 1                                        // 000000002D4C: BF0A8132
	s_cbranch_scc0 label_012F                                  // 000000002D50: BF84001A
	v_and_b32_e64 v12, v0, 15                                  // 000000002D54: D113000C 00011F00
	v_mul_lo_u32 v12, v12, s30                                 // 000000002D5C: D285000C 00003D0C
	v_lshrrev_b32_e32 v4, 4, v0                                // 000000002D64: 20080084
	v_mul_i32_i24_e32 v4, 16, v4                               // 000000002D68: 0C080890
	v_add_u32_e32 v12, v4, v12                                 // 000000002D6C: 68181904
	s_mul_i32 s31, s23, 32                                     // 000000002D70: 921FA017
	s_mul_i32 s31, s31, s30                                    // 000000002D74: 921F1E1F
	v_add_u32_e32 v12, s31, v12                                // 000000002D78: 6818181F
	s_mul_i32 s31, s22, 64                                     // 000000002D7C: 921FC016
	s_mul_i32 s31, s31, 4                                      // 000000002D80: 921F841F
	v_add_u32_e32 v12, s31, v12                                // 000000002D84: 6818181F
	s_mul_i32 s31, 64, s24                                     // 000000002D88: 921F18C0
	v_add_u32_e32 v12, s31, v12                                // 000000002D8C: 6818181F
	s_mul_i32 s31, 16, s30                                     // 000000002D90: 921F1E90
	v_add_u32_e32 v13, s31, v12                                // 000000002D94: 681A181F
	s_mul_i32 s31, s23, 32                                     // 000000002D98: 921FA017
	s_add_i32 s31, s31, s24                                    // 000000002D9C: 811F181F
	s_mul_i32 s31, s31, s30                                    // 000000002DA0: 921F1E1F
	s_mul_i32 s32, s22, 64                                     // 000000002DA4: 9220C016
	s_mul_i32 s32, s32, 4                                      // 000000002DA8: 92208420
	s_add_i32 s31, s31, s32                                    // 000000002DAC: 811F201F
	v_lshlrev_b32_e32 v14, 2, v0                               // 000000002DB0: 241C0082
	v_add_u32_e32 v14, s31, v14                                // 000000002DB4: 681C1C1F
	s_branch label_014E                                        // 000000002DB8: BF82001F

0000000000002dbc <label_012F>:
	v_and_b32_e64 v12, v0, 15                                  // 000000002DBC: D113000C 00011F00
	v_mul_lo_u32 v12, v12, s30                                 // 000000002DC4: D285000C 00003D0C
	v_lshrrev_b32_e32 v4, 4, v0                                // 000000002DCC: 20080084
	v_mul_i32_i24_e32 v4, 8, v4                                // 000000002DD0: 0C080888
	v_add_u32_e32 v12, v4, v12                                 // 000000002DD4: 68181904
	s_mul_i32 s31, s23, 32                                     // 000000002DD8: 921FA017
	s_mul_i32 s31, s31, s30                                    // 000000002DDC: 921F1E1F
	v_add_u32_e32 v12, s31, v12                                // 000000002DE0: 6818181F
	s_mul_i32 s31, s22, 64                                     // 000000002DE4: 921FC016
	s_mul_i32 s31, s31, 2                                      // 000000002DE8: 921F821F
	v_add_u32_e32 v12, s31, v12                                // 000000002DEC: 6818181F
	s_mul_i32 s31, 32, s24                                     // 000000002DF0: 921F18A0
	v_add_u32_e32 v12, s31, v12                                // 000000002DF4: 6818181F
	s_mul_i32 s31, 16, s30                                     // 000000002DF8: 921F1E90
	v_add_u32_e32 v13, s31, v12                                // 000000002DFC: 681A181F
	s_mul_i32 s31, s23, 32                                     // 000000002E00: 921FA017
	s_add_i32 s31, s31, s24                                    // 000000002E04: 811F181F
	s_mul_i32 s31, s31, s30                                    // 000000002E08: 921F1E1F
	s_mul_i32 s32, s22, 64                                     // 000000002E0C: 9220C016
	s_mul_i32 s32, s32, 2                                      // 000000002E10: 92208220
	s_add_i32 s31, s31, s32                                    // 000000002E14: 811F201F
	v_lshrrev_b32_e32 v4, 5, v0                                // 000000002E18: 20080085
	s_mul_i32 s32, s30, 4                                      // 000000002E1C: 9220841E
	v_mul_lo_u32 v4, v4, s32                                   // 000000002E20: D2850004 00004104
	v_and_b32_e32 v5, 31, v0                                   // 000000002E28: 260A009F
	v_lshlrev_b32_e32 v5, 2, v5                                // 000000002E2C: 240A0A82
	v_add_u32_e32 v14, v4, v5                                  // 000000002E30: 681C0B04
	v_add_u32_e32 v14, s31, v14                                // 000000002E34: 681C1C1F

0000000000002e38 <label_014E>:
	s_cmp_eq_u32 s57, 1                                        // 000000002E38: BF068139
	s_cbranch_scc0 label_0179                                  // 000000002E3C: BF840029
	s_cmp_eq_i32 s49, 0                                        // 000000002E40: BF008031
	s_cbranch_scc0 label_0179                                  // 000000002E44: BF840027
	s_mul_i32 s31, 2, s26                                      // 000000002E48: 921F1A82
	s_mov_b32 s38, s31                                         // 000000002E4C: BEA6001F
	v_lshrrev_b32_e32 v4, 4, v0                                // 000000002E50: 20080084
	v_mul_i32_i24_e32 v44, 8, v4                               // 000000002E54: 0C580888
	s_mul_i32 s31, 32, s24                                     // 000000002E58: 921F18A0
	v_add_u32_e32 v44, s31, v44                                // 000000002E5C: 6858581F
	s_mul_i32 s32, s22, 64                                     // 000000002E60: 9220C016
	s_mul_i32 s32, s32, 2                                      // 000000002E64: 92208220
	v_add_u32_e32 v44, s32, v44                                // 000000002E68: 68585820
	v_mov_b32_e32 v46, 0                                       // 000000002E6C: 7E5C0280
	v_mov_b32_e32 v47, 0                                       // 000000002E70: 7E5E0280
	buffer_load_dwordx2 v[46:47], v44, s[36:39], 0 offen       // 000000002E74: E0541000 80092E2C
	s_waitcnt vmcnt(0)                                         // 000000002E7C: BF8C0F70
	v_mov_b32_e32 v4, 0xffff0000                               // 000000002E80: 7E0802FF FFFF0000
	v_and_b32_e32 v4, v46, v4                                  // 000000002E88: 2608092E
	v_mov_b32_e32 v5, 0xffff                                   // 000000002E8C: 7E0A02FF 0000FFFF
	v_and_b32_e32 v5, v46, v5                                  // 000000002E94: 260A0B2E
	v_mov_b32_e32 v49, v4                                      // 000000002E98: 7E620304
	v_lshlrev_b32_e32 v48, 16, v5                              // 000000002E9C: 24600A90
	v_mov_b32_e32 v4, 0xffff0000                               // 000000002EA0: 7E0802FF FFFF0000
	v_and_b32_e32 v4, v47, v4                                  // 000000002EA8: 2608092F
	v_mov_b32_e32 v5, 0xffff                                   // 000000002EAC: 7E0A02FF 0000FFFF
	v_and_b32_e32 v5, v47, v5                                  // 000000002EB4: 260A0B2F
	v_mov_b32_e32 v51, v4                                      // 000000002EB8: 7E660304
	v_lshlrev_b32_e32 v50, 16, v5                              // 000000002EBC: 24640A90
	v_mov_b32_e32 v32, v48                                     // 000000002EC0: 7E400330
	v_mov_b32_e32 v33, v49                                     // 000000002EC4: 7E420331
	v_mov_b32_e32 v34, v50                                     // 000000002EC8: 7E440332
	v_mov_b32_e32 v35, v51                                     // 000000002ECC: 7E460333
	v_mov_b32_e32 v36, v48                                     // 000000002ED0: 7E480330
	v_mov_b32_e32 v37, v49                                     // 000000002ED4: 7E4A0331
	v_mov_b32_e32 v38, v50                                     // 000000002ED8: 7E4C0332
	v_mov_b32_e32 v39, v51                                     // 000000002EDC: 7E4E0333
	s_branch label_0181                                        // 000000002EE0: BF820008

0000000000002ee4 <label_0179>:
	v_mov_b32_e32 v32, 0                                       // 000000002EE4: 7E400280
	v_mov_b32_e32 v33, 0                                       // 000000002EE8: 7E420280
	v_mov_b32_e32 v34, 0                                       // 000000002EEC: 7E440280
	v_mov_b32_e32 v35, 0                                       // 000000002EF0: 7E460280
	v_mov_b32_e32 v36, 0                                       // 000000002EF4: 7E480280
	v_mov_b32_e32 v37, 0                                       // 000000002EF8: 7E4A0280
	v_mov_b32_e32 v38, 0                                       // 000000002EFC: 7E4C0280
	v_mov_b32_e32 v39, 0                                       // 000000002F00: 7E4E0280

0000000000002f04 <label_0181>:
	s_add_u32 m0, 0, s42                                       // 000000002F04: 807C2A80
	buffer_load_dword v15, s[4:7], 0 offen lds                 // 000000002F08: E0511000 8001000F
	s_add_u32 m0, 0x100, s42                                   // 000000002F10: 807C2AFF 00000100
	buffer_load_dword v16, s[4:7], 0 offen lds                 // 000000002F18: E0511000 80010010
	s_add_u32 m0, 0x200, s42                                   // 000000002F20: 807C2AFF 00000200
	buffer_load_dword v17, s[4:7], 0 offen lds                 // 000000002F28: E0511000 80010011
	s_add_u32 m0, 0x300, s42                                   // 000000002F30: 807C2AFF 00000300
	buffer_load_dword v18, s[4:7], 0 offen lds                 // 000000002F38: E0511000 80010012
	s_add_u32 s4, s40, s4                                      // 000000002F40: 80040428
	s_addc_u32 s5, 0, s5                                       // 000000002F44: 82050580
	s_sub_u32 s6, s6, s40                                      // 000000002F48: 80862806
	s_add_u32 m0, 0, s45                                       // 000000002F4C: 807C2D80
	buffer_load_dword v20, s[8:11], 0 offen lds                // 000000002F50: E0511000 80020014
	s_add_u32 m0, 0x100, s45                                   // 000000002F58: 807C2DFF 00000100
	buffer_load_dword v21, s[8:11], 0 offen lds                // 000000002F60: E0511000 80020015
	s_add_u32 m0, 0x200, s45                                   // 000000002F68: 807C2DFF 00000200
	buffer_load_dword v22, s[8:11], 0 offen lds                // 000000002F70: E0511000 80020016
	s_add_u32 m0, 0x300, s45                                   // 000000002F78: 807C2DFF 00000300
	buffer_load_dword v23, s[8:11], 0 offen lds                // 000000002F80: E0511000 80020017
	s_add_u32 m0, 0x400, s45                                   // 000000002F88: 807C2DFF 00000400
	buffer_load_dword v24, s[8:11], 0 offen lds                // 000000002F90: E0511000 80020018
	s_add_u32 m0, 0x500, s45                                   // 000000002F98: 807C2DFF 00000500
	buffer_load_dword v25, s[8:11], 0 offen lds                // 000000002FA0: E0511000 80020019
	s_add_u32 m0, 0x600, s45                                   // 000000002FA8: 807C2DFF 00000600
	buffer_load_dword v26, s[8:11], 0 offen lds                // 000000002FB0: E0511000 8002001A
	s_add_u32 m0, 0x700, s45                                   // 000000002FB8: 807C2DFF 00000700
	buffer_load_dword v27, s[8:11], 0 offen lds                // 000000002FC0: E0511000 8002001B
	s_add_u32 s8, s41, s8                                      // 000000002FC8: 80080829
	s_addc_u32 s9, 0, s9                                       // 000000002FCC: 82090980
	s_sub_u32 s10, s10, s41                                    // 000000002FD0: 808A290A
	s_add_u32 m0, 0, s43                                       // 000000002FD4: 807C2B80
	buffer_load_dword v15, s[4:7], 0 offen lds                 // 000000002FD8: E0511000 8001000F
	s_add_u32 m0, 0x100, s43                                   // 000000002FE0: 807C2BFF 00000100
	buffer_load_dword v16, s[4:7], 0 offen lds                 // 000000002FE8: E0511000 80010010
	s_add_u32 m0, 0x200, s43                                   // 000000002FF0: 807C2BFF 00000200
	buffer_load_dword v17, s[4:7], 0 offen lds                 // 000000002FF8: E0511000 80010011
	s_add_u32 m0, 0x300, s43                                   // 000000003000: 807C2BFF 00000300
	buffer_load_dword v18, s[4:7], 0 offen lds                 // 000000003008: E0511000 80010012
	s_add_u32 s4, s40, s4                                      // 000000003010: 80040428
	s_addc_u32 s5, 0, s5                                       // 000000003014: 82050580
	s_sub_u32 s6, s6, s40                                      // 000000003018: 80862806
	s_add_u32 m0, 0, s46                                       // 00000000301C: 807C2E80
	buffer_load_dword v20, s[8:11], 0 offen lds                // 000000003020: E0511000 80020014
	s_add_u32 m0, 0x100, s46                                   // 000000003028: 807C2EFF 00000100
	buffer_load_dword v21, s[8:11], 0 offen lds                // 000000003030: E0511000 80020015
	s_add_u32 m0, 0x200, s46                                   // 000000003038: 807C2EFF 00000200
	buffer_load_dword v22, s[8:11], 0 offen lds                // 000000003040: E0511000 80020016
	s_add_u32 m0, 0x300, s46                                   // 000000003048: 807C2EFF 00000300
	buffer_load_dword v23, s[8:11], 0 offen lds                // 000000003050: E0511000 80020017
	s_add_u32 m0, 0x400, s46                                   // 000000003058: 807C2EFF 00000400
	buffer_load_dword v24, s[8:11], 0 offen lds                // 000000003060: E0511000 80020018
	s_add_u32 m0, 0x500, s46                                   // 000000003068: 807C2EFF 00000500
	buffer_load_dword v25, s[8:11], 0 offen lds                // 000000003070: E0511000 80020019
	s_add_u32 m0, 0x600, s46                                   // 000000003078: 807C2EFF 00000600
	buffer_load_dword v26, s[8:11], 0 offen lds                // 000000003080: E0511000 8002001A
	s_add_u32 m0, 0x700, s46                                   // 000000003088: 807C2EFF 00000700
	buffer_load_dword v27, s[8:11], 0 offen lds                // 000000003090: E0511000 8002001B
	s_add_u32 s8, s41, s8                                      // 000000003098: 80080829
	s_addc_u32 s9, 0, s9                                       // 00000000309C: 82090980
	s_sub_u32 s10, s10, s41                                    // 0000000030A0: 808A290A
	s_add_u32 m0, 0, s44                                       // 0000000030A4: 807C2C80
	buffer_load_dword v15, s[4:7], 0 offen lds                 // 0000000030A8: E0511000 8001000F
	s_add_u32 m0, 0x100, s44                                   // 0000000030B0: 807C2CFF 00000100
	buffer_load_dword v16, s[4:7], 0 offen lds                 // 0000000030B8: E0511000 80010010
	s_add_u32 m0, 0x200, s44                                   // 0000000030C0: 807C2CFF 00000200
	buffer_load_dword v17, s[4:7], 0 offen lds                 // 0000000030C8: E0511000 80010011
	s_add_u32 m0, 0x300, s44                                   // 0000000030D0: 807C2CFF 00000300
	buffer_load_dword v18, s[4:7], 0 offen lds                 // 0000000030D8: E0511000 80010012
	s_add_u32 s4, s40, s4                                      // 0000000030E0: 80040428
	s_addc_u32 s5, 0, s5                                       // 0000000030E4: 82050580
	s_sub_u32 s6, s6, s40                                      // 0000000030E8: 80862806
	s_add_u32 m0, 0, s47                                       // 0000000030EC: 807C2F80
	buffer_load_dword v20, s[8:11], 0 offen lds                // 0000000030F0: E0511000 80020014
	s_add_u32 m0, 0x100, s47                                   // 0000000030F8: 807C2FFF 00000100
	buffer_load_dword v21, s[8:11], 0 offen lds                // 000000003100: E0511000 80020015
	s_add_u32 m0, 0x200, s47                                   // 000000003108: 807C2FFF 00000200
	buffer_load_dword v22, s[8:11], 0 offen lds                // 000000003110: E0511000 80020016
	s_add_u32 m0, 0x300, s47                                   // 000000003118: 807C2FFF 00000300
	;; [unrolled: 2-line block ×5, first 2 shown]
	buffer_load_dword v26, s[8:11], 0 offen lds                // 000000003150: E0511000 8002001A
	s_add_u32 m0, 0x700, s47                                   // 000000003158: 807C2FFF 00000700
	buffer_load_dword v27, s[8:11], 0 offen lds                // 000000003160: E0511000 8002001B
	s_add_u32 s8, s41, s8                                      // 000000003168: 80080829
	s_addc_u32 s9, 0, s9                                       // 00000000316C: 82090980
	s_sub_u32 s10, s10, s41                                    // 000000003170: 808A290A
	s_mov_b32 s34, s27                                         // 000000003174: BEA2001B
	s_mov_b32 s33, 0                                           // 000000003178: BEA10080
	s_mul_i32 s31, s23, 32                                     // 00000000317C: 921FA017
	s_sub_i32 s51, s25, s31                                    // 000000003180: 81B31F19
	s_waitcnt vmcnt(24)                                        // 000000003184: BF8C4F78
	s_barrier                                                  // 000000003188: BF8A0000
	ds_read_b128 a[0:3], v19                                   // 00000000318C: DBFE0000 00000013
	ds_read_b128 a[4:7], v19 offset:64                         // 000000003194: DBFE0040 04000013
	ds_read_b128 a[8:11], v19 offset:512                       // 00000000319C: DBFE0200 08000013
	ds_read_b128 a[12:15], v19 offset:576                      // 0000000031A4: DBFE0240 0C000013
	ds_read_b128 a[32:35], v28 offset:12672                    // 0000000031AC: DBFE3180 2000001C
	ds_read_b128 a[36:39], v28 offset:12736                    // 0000000031B4: DBFE31C0 2400001C
	s_cmp_lt_i32 s24, 2                                        // 0000000031BC: BF048218
	s_cbranch_scc0 label_0454                                  // 0000000031C0: BF840223

00000000000031c4 <label_0231>:
	s_waitcnt vmcnt(12) lgkmcnt(0)                             // 0000000031C4: BF8C007C
	s_barrier                                                  // 0000000031C8: BF8A0000
	v_mfma_f32_16x16x16_bf16 v[32:35], a[32:33], a[0:1], v[32:35]// 0000000031CC: D3E10020 1C820120
	s_add_u32 m0, 0, s42                                       // 0000000031D4: 807C2A80
	buffer_load_dword v15, s[4:7], 0 offen lds                 // 0000000031D8: E0511000 8001000F
	v_mfma_f32_16x16x16_bf16 v[32:35], a[34:35], a[2:3], v[32:35]// 0000000031E0: D3E10020 1C820522
	s_add_u32 m0, 0x100, s42                                   // 0000000031E8: 807C2AFF 00000100
	buffer_load_dword v16, s[4:7], 0 offen lds                 // 0000000031F0: E0511000 80010010
	ds_read_b128 a[16:19], v19 offset:4224                     // 0000000031F8: DBFE1080 10000013
	ds_read_b128 a[20:23], v19 offset:4288                     // 000000003200: DBFE10C0 14000013
	v_mfma_f32_16x16x16_bf16 v[32:35], a[36:37], a[4:5], v[32:35]// 000000003208: D3E10020 1C820924
	s_add_u32 m0, 0x200, s42                                   // 000000003210: 807C2AFF 00000200
	buffer_load_dword v17, s[4:7], 0 offen lds                 // 000000003218: E0511000 80010011
	v_mfma_f32_16x16x16_bf16 v[32:35], a[38:39], a[6:7], v[32:35]// 000000003220: D3E10020 1C820D26
	s_add_u32 m0, 0x300, s42                                   // 000000003228: 807C2AFF 00000300
	buffer_load_dword v18, s[4:7], 0 offen lds                 // 000000003230: E0511000 80010012
	ds_read_b128 a[24:27], v19 offset:4736                     // 000000003238: DBFE1280 18000013
	ds_read_b128 a[28:31], v19 offset:4800                     // 000000003240: DBFE12C0 1C000013
	v_mfma_f32_16x16x16_bf16 v[36:39], a[32:33], a[8:9], v[36:39]// 000000003248: D3E10024 1C921120
	s_add_u32 s31, 0x100, s33                                  // 000000003250: 801F21FF 00000100
	s_cmp_lt_u32 s31, s34                                      // 000000003258: BF0A221F
	s_cselect_b32 s40, s40, 0                                  // 00000000325C: 85288028
	s_add_u32 m0, 0, s45                                       // 000000003260: 807C2D80
	buffer_load_dword v20, s[8:11], 0 offen lds                // 000000003264: E0511000 80020014
	v_mfma_f32_16x16x16_bf16 v[36:39], a[34:35], a[10:11], v[36:39]// 00000000326C: D3E10024 1C921522
	s_add_u32 m0, 0x100, s45                                   // 000000003274: 807C2DFF 00000100
	buffer_load_dword v21, s[8:11], 0 offen lds                // 00000000327C: E0511000 80020015
	s_add_u32 s4, s40, s4                                      // 000000003284: 80040428
	s_addc_u32 s5, 0, s5                                       // 000000003288: 82050580
	ds_read_b128 a[40:43], v28 offset:20992                    // 00000000328C: DBFE5200 2800001C
	ds_read_b128 a[44:47], v28 offset:21056                    // 000000003294: DBFE5240 2C00001C
	v_mfma_f32_16x16x16_bf16 v[36:39], a[36:37], a[12:13], v[36:39]// 00000000329C: D3E10024 1C921924
	s_add_u32 m0, 0x200, s45                                   // 0000000032A4: 807C2DFF 00000200
	buffer_load_dword v22, s[8:11], 0 offen lds                // 0000000032AC: E0511000 80020016
	v_mfma_f32_16x16x16_bf16 v[36:39], a[38:39], a[14:15], v[36:39]// 0000000032B4: D3E10024 1C921D26
	s_add_u32 m0, 0x300, s45                                   // 0000000032BC: 807C2DFF 00000300
	buffer_load_dword v23, s[8:11], 0 offen lds                // 0000000032C4: E0511000 80020017
	s_add_u32 m0, 0x400, s45                                   // 0000000032CC: 807C2DFF 00000400
	buffer_load_dword v24, s[8:11], 0 offen lds                // 0000000032D4: E0511000 80020018
	s_add_u32 m0, 0x500, s45                                   // 0000000032DC: 807C2DFF 00000500
	buffer_load_dword v25, s[8:11], 0 offen lds                // 0000000032E4: E0511000 80020019
	s_add_u32 m0, 0x600, s45                                   // 0000000032EC: 807C2DFF 00000600
	buffer_load_dword v26, s[8:11], 0 offen lds                // 0000000032F4: E0511000 8002001A
	s_add_u32 m0, 0x700, s45                                   // 0000000032FC: 807C2DFF 00000700
	buffer_load_dword v27, s[8:11], 0 offen lds                // 000000003304: E0511000 8002001B
	s_add_u32 s31, 0x100, s33                                  // 00000000330C: 801F21FF 00000100
	s_cmp_lt_u32 s31, s34                                      // 000000003314: BF0A221F
	s_cselect_b32 s41, s41, 0                                  // 000000003318: 85298029
	s_add_u32 s8, s41, s8                                      // 00000000331C: 80080829
	s_addc_u32 s9, 0, s9                                       // 000000003320: 82090980
	s_addk_i32 s33, 0x40                                       // 000000003324: B7210040
	s_cmp_lt_i32 s33, s34                                      // 000000003328: BF042221
	s_cbranch_scc0 label_0677                                  // 00000000332C: BF8403EB
	s_waitcnt vmcnt(12) lgkmcnt(0)                             // 000000003330: BF8C007C
	s_barrier                                                  // 000000003334: BF8A0000
	v_mfma_f32_16x16x16_bf16 v[32:35], a[40:41], a[16:17], v[32:35]// 000000003338: D3E10020 1C822128
	s_add_u32 m0, 0, s43                                       // 000000003340: 807C2B80
	buffer_load_dword v15, s[4:7], 0 offen lds                 // 000000003344: E0511000 8001000F
	v_mfma_f32_16x16x16_bf16 v[32:35], a[42:43], a[18:19], v[32:35]// 00000000334C: D3E10020 1C82252A
	s_add_u32 m0, 0x100, s43                                   // 000000003354: 807C2BFF 00000100
	buffer_load_dword v16, s[4:7], 0 offen lds                 // 00000000335C: E0511000 80010010
	ds_read_b128 a[0:3], v19 offset:8448                       // 000000003364: DBFE2100 00000013
	ds_read_b128 a[4:7], v19 offset:8512                       // 00000000336C: DBFE2140 04000013
	v_mfma_f32_16x16x16_bf16 v[32:35], a[44:45], a[20:21], v[32:35]// 000000003374: D3E10020 1C82292C
	s_add_u32 m0, 0x200, s43                                   // 00000000337C: 807C2BFF 00000200
	buffer_load_dword v17, s[4:7], 0 offen lds                 // 000000003384: E0511000 80010011
	v_mfma_f32_16x16x16_bf16 v[32:35], a[46:47], a[22:23], v[32:35]// 00000000338C: D3E10020 1C822D2E
	s_add_u32 m0, 0x300, s43                                   // 000000003394: 807C2BFF 00000300
	buffer_load_dword v18, s[4:7], 0 offen lds                 // 00000000339C: E0511000 80010012
	ds_read_b128 a[8:11], v19 offset:8960                      // 0000000033A4: DBFE2300 08000013
	ds_read_b128 a[12:15], v19 offset:9024                     // 0000000033AC: DBFE2340 0C000013
	v_mfma_f32_16x16x16_bf16 v[36:39], a[40:41], a[24:25], v[36:39]// 0000000033B4: D3E10024 1C923128
	s_add_u32 s31, 0x100, s33                                  // 0000000033BC: 801F21FF 00000100
	s_cmp_lt_u32 s31, s34                                      // 0000000033C4: BF0A221F
	s_cselect_b32 s40, s40, 0                                  // 0000000033C8: 85288028
	s_add_u32 m0, 0, s46                                       // 0000000033CC: 807C2E80
	buffer_load_dword v20, s[8:11], 0 offen lds                // 0000000033D0: E0511000 80020014
	v_mfma_f32_16x16x16_bf16 v[36:39], a[42:43], a[26:27], v[36:39]// 0000000033D8: D3E10024 1C92352A
	s_add_u32 m0, 0x100, s46                                   // 0000000033E0: 807C2EFF 00000100
	buffer_load_dword v21, s[8:11], 0 offen lds                // 0000000033E8: E0511000 80020015
	s_add_u32 s4, s40, s4                                      // 0000000033F0: 80040428
	s_addc_u32 s5, 0, s5                                       // 0000000033F4: 82050580
	ds_read_b128 a[32:35], v28 offset:29312                    // 0000000033F8: DBFE7280 2000001C
	ds_read_b128 a[36:39], v28 offset:29376                    // 000000003400: DBFE72C0 2400001C
	v_mfma_f32_16x16x16_bf16 v[36:39], a[44:45], a[28:29], v[36:39]// 000000003408: D3E10024 1C92392C
	s_add_u32 m0, 0x200, s46                                   // 000000003410: 807C2EFF 00000200
	buffer_load_dword v22, s[8:11], 0 offen lds                // 000000003418: E0511000 80020016
	v_mfma_f32_16x16x16_bf16 v[36:39], a[46:47], a[30:31], v[36:39]// 000000003420: D3E10024 1C923D2E
	s_add_u32 m0, 0x300, s46                                   // 000000003428: 807C2EFF 00000300
	buffer_load_dword v23, s[8:11], 0 offen lds                // 000000003430: E0511000 80020017
	s_add_u32 m0, 0x400, s46                                   // 000000003438: 807C2EFF 00000400
	buffer_load_dword v24, s[8:11], 0 offen lds                // 000000003440: E0511000 80020018
	;; [unrolled: 2-line block ×3, first 2 shown]
	s_add_u32 m0, 0x600, s46                                   // 000000003458: 807C2EFF 00000600
	buffer_load_dword v26, s[8:11], 0 offen lds                // 000000003460: E0511000 8002001A
	s_add_u32 m0, 0x700, s46                                   // 000000003468: 807C2EFF 00000700
	buffer_load_dword v27, s[8:11], 0 offen lds                // 000000003470: E0511000 8002001B
	s_add_u32 s31, 0x100, s33                                  // 000000003478: 801F21FF 00000100
	s_cmp_lt_u32 s31, s34                                      // 000000003480: BF0A221F
	s_cselect_b32 s41, s41, 0                                  // 000000003484: 85298029
	s_add_u32 s8, s41, s8                                      // 000000003488: 80080829
	s_addc_u32 s9, 0, s9                                       // 00000000348C: 82090980
	s_addk_i32 s33, 0x40                                       // 000000003490: B7210040
	s_cmp_lt_i32 s33, s34                                      // 000000003494: BF042221
	s_cbranch_scc0 label_0677                                  // 000000003498: BF840390
	s_waitcnt vmcnt(12) lgkmcnt(0)                             // 00000000349C: BF8C007C
	s_barrier                                                  // 0000000034A0: BF8A0000
	v_mfma_f32_16x16x16_bf16 v[32:35], a[32:33], a[0:1], v[32:35]// 0000000034A4: D3E10020 1C820120
	s_add_u32 m0, 0, s44                                       // 0000000034AC: 807C2C80
	buffer_load_dword v15, s[4:7], 0 offen lds                 // 0000000034B0: E0511000 8001000F
	v_mfma_f32_16x16x16_bf16 v[32:35], a[34:35], a[2:3], v[32:35]// 0000000034B8: D3E10020 1C820522
	s_add_u32 m0, 0x100, s44                                   // 0000000034C0: 807C2CFF 00000100
	buffer_load_dword v16, s[4:7], 0 offen lds                 // 0000000034C8: E0511000 80010010
	ds_read_b128 a[16:19], v19                                 // 0000000034D0: DBFE0000 10000013
	ds_read_b128 a[20:23], v19 offset:64                       // 0000000034D8: DBFE0040 14000013
	v_mfma_f32_16x16x16_bf16 v[32:35], a[36:37], a[4:5], v[32:35]// 0000000034E0: D3E10020 1C820924
	s_add_u32 m0, 0x200, s44                                   // 0000000034E8: 807C2CFF 00000200
	buffer_load_dword v17, s[4:7], 0 offen lds                 // 0000000034F0: E0511000 80010011
	v_mfma_f32_16x16x16_bf16 v[32:35], a[38:39], a[6:7], v[32:35]// 0000000034F8: D3E10020 1C820D26
	s_add_u32 m0, 0x300, s44                                   // 000000003500: 807C2CFF 00000300
	buffer_load_dword v18, s[4:7], 0 offen lds                 // 000000003508: E0511000 80010012
	ds_read_b128 a[24:27], v19 offset:512                      // 000000003510: DBFE0200 18000013
	ds_read_b128 a[28:31], v19 offset:576                      // 000000003518: DBFE0240 1C000013
	v_mfma_f32_16x16x16_bf16 v[36:39], a[32:33], a[8:9], v[36:39]// 000000003520: D3E10024 1C921120
	s_add_u32 s31, 0x100, s33                                  // 000000003528: 801F21FF 00000100
	s_cmp_lt_u32 s31, s34                                      // 000000003530: BF0A221F
	s_cselect_b32 s40, s40, 0                                  // 000000003534: 85288028
	s_add_u32 m0, 0, s47                                       // 000000003538: 807C2F80
	buffer_load_dword v20, s[8:11], 0 offen lds                // 00000000353C: E0511000 80020014
	v_mfma_f32_16x16x16_bf16 v[36:39], a[34:35], a[10:11], v[36:39]// 000000003544: D3E10024 1C921522
	s_add_u32 m0, 0x100, s47                                   // 00000000354C: 807C2FFF 00000100
	buffer_load_dword v21, s[8:11], 0 offen lds                // 000000003554: E0511000 80020015
	s_add_u32 s4, s40, s4                                      // 00000000355C: 80040428
	s_addc_u32 s5, 0, s5                                       // 000000003560: 82050580
	ds_read_b128 a[40:43], v28 offset:12672                    // 000000003564: DBFE3180 2800001C
	ds_read_b128 a[44:47], v28 offset:12736                    // 00000000356C: DBFE31C0 2C00001C
	v_mfma_f32_16x16x16_bf16 v[36:39], a[36:37], a[12:13], v[36:39]// 000000003574: D3E10024 1C921924
	s_add_u32 m0, 0x200, s47                                   // 00000000357C: 807C2FFF 00000200
	buffer_load_dword v22, s[8:11], 0 offen lds                // 000000003584: E0511000 80020016
	v_mfma_f32_16x16x16_bf16 v[36:39], a[38:39], a[14:15], v[36:39]// 00000000358C: D3E10024 1C921D26
	s_add_u32 m0, 0x300, s47                                   // 000000003594: 807C2FFF 00000300
	buffer_load_dword v23, s[8:11], 0 offen lds                // 00000000359C: E0511000 80020017
	s_add_u32 m0, 0x400, s47                                   // 0000000035A4: 807C2FFF 00000400
	buffer_load_dword v24, s[8:11], 0 offen lds                // 0000000035AC: E0511000 80020018
	s_add_u32 m0, 0x500, s47                                   // 0000000035B4: 807C2FFF 00000500
	buffer_load_dword v25, s[8:11], 0 offen lds                // 0000000035BC: E0511000 80020019
	s_add_u32 m0, 0x600, s47                                   // 0000000035C4: 807C2FFF 00000600
	buffer_load_dword v26, s[8:11], 0 offen lds                // 0000000035CC: E0511000 8002001A
	s_add_u32 m0, 0x700, s47                                   // 0000000035D4: 807C2FFF 00000700
	buffer_load_dword v27, s[8:11], 0 offen lds                // 0000000035DC: E0511000 8002001B
	s_add_u32 s31, 0x100, s33                                  // 0000000035E4: 801F21FF 00000100
	s_cmp_lt_u32 s31, s34                                      // 0000000035EC: BF0A221F
	s_cselect_b32 s41, s41, 0                                  // 0000000035F0: 85298029
	s_add_u32 s8, s41, s8                                      // 0000000035F4: 80080829
	s_addc_u32 s9, 0, s9                                       // 0000000035F8: 82090980
	s_addk_i32 s33, 0x40                                       // 0000000035FC: B7210040
	s_cmp_lt_i32 s33, s34                                      // 000000003600: BF042221
	s_cbranch_scc0 label_0677                                  // 000000003604: BF840335
	s_waitcnt vmcnt(12) lgkmcnt(0)                             // 000000003608: BF8C007C
	s_barrier                                                  // 00000000360C: BF8A0000
	v_mfma_f32_16x16x16_bf16 v[32:35], a[40:41], a[16:17], v[32:35]// 000000003610: D3E10020 1C822128
	s_add_u32 m0, 0, s42                                       // 000000003618: 807C2A80
	buffer_load_dword v15, s[4:7], 0 offen lds                 // 00000000361C: E0511000 8001000F
	v_mfma_f32_16x16x16_bf16 v[32:35], a[42:43], a[18:19], v[32:35]// 000000003624: D3E10020 1C82252A
	s_add_u32 m0, 0x100, s42                                   // 00000000362C: 807C2AFF 00000100
	buffer_load_dword v16, s[4:7], 0 offen lds                 // 000000003634: E0511000 80010010
	ds_read_b128 a[0:3], v19 offset:4224                       // 00000000363C: DBFE1080 00000013
	ds_read_b128 a[4:7], v19 offset:4288                       // 000000003644: DBFE10C0 04000013
	v_mfma_f32_16x16x16_bf16 v[32:35], a[44:45], a[20:21], v[32:35]// 00000000364C: D3E10020 1C82292C
	s_add_u32 m0, 0x200, s42                                   // 000000003654: 807C2AFF 00000200
	buffer_load_dword v17, s[4:7], 0 offen lds                 // 00000000365C: E0511000 80010011
	v_mfma_f32_16x16x16_bf16 v[32:35], a[46:47], a[22:23], v[32:35]// 000000003664: D3E10020 1C822D2E
	s_add_u32 m0, 0x300, s42                                   // 00000000366C: 807C2AFF 00000300
	buffer_load_dword v18, s[4:7], 0 offen lds                 // 000000003674: E0511000 80010012
	ds_read_b128 a[8:11], v19 offset:4736                      // 00000000367C: DBFE1280 08000013
	ds_read_b128 a[12:15], v19 offset:4800                     // 000000003684: DBFE12C0 0C000013
	v_mfma_f32_16x16x16_bf16 v[36:39], a[40:41], a[24:25], v[36:39]// 00000000368C: D3E10024 1C923128
	s_add_u32 s31, 0x100, s33                                  // 000000003694: 801F21FF 00000100
	s_cmp_lt_u32 s31, s34                                      // 00000000369C: BF0A221F
	s_cselect_b32 s40, s40, 0                                  // 0000000036A0: 85288028
	s_add_u32 m0, 0, s45                                       // 0000000036A4: 807C2D80
	buffer_load_dword v20, s[8:11], 0 offen lds                // 0000000036A8: E0511000 80020014
	v_mfma_f32_16x16x16_bf16 v[36:39], a[42:43], a[26:27], v[36:39]// 0000000036B0: D3E10024 1C92352A
	s_add_u32 m0, 0x100, s45                                   // 0000000036B8: 807C2DFF 00000100
	buffer_load_dword v21, s[8:11], 0 offen lds                // 0000000036C0: E0511000 80020015
	s_add_u32 s4, s40, s4                                      // 0000000036C8: 80040428
	s_addc_u32 s5, 0, s5                                       // 0000000036CC: 82050580
	ds_read_b128 a[32:35], v28 offset:20992                    // 0000000036D0: DBFE5200 2000001C
	ds_read_b128 a[36:39], v28 offset:21056                    // 0000000036D8: DBFE5240 2400001C
	v_mfma_f32_16x16x16_bf16 v[36:39], a[44:45], a[28:29], v[36:39]// 0000000036E0: D3E10024 1C92392C
	s_add_u32 m0, 0x200, s45                                   // 0000000036E8: 807C2DFF 00000200
	buffer_load_dword v22, s[8:11], 0 offen lds                // 0000000036F0: E0511000 80020016
	v_mfma_f32_16x16x16_bf16 v[36:39], a[46:47], a[30:31], v[36:39]// 0000000036F8: D3E10024 1C923D2E
	s_add_u32 m0, 0x300, s45                                   // 000000003700: 807C2DFF 00000300
	buffer_load_dword v23, s[8:11], 0 offen lds                // 000000003708: E0511000 80020017
	s_add_u32 m0, 0x400, s45                                   // 000000003710: 807C2DFF 00000400
	buffer_load_dword v24, s[8:11], 0 offen lds                // 000000003718: E0511000 80020018
	s_add_u32 m0, 0x500, s45                                   // 000000003720: 807C2DFF 00000500
	buffer_load_dword v25, s[8:11], 0 offen lds                // 000000003728: E0511000 80020019
	s_add_u32 m0, 0x600, s45                                   // 000000003730: 807C2DFF 00000600
	buffer_load_dword v26, s[8:11], 0 offen lds                // 000000003738: E0511000 8002001A
	s_add_u32 m0, 0x700, s45                                   // 000000003740: 807C2DFF 00000700
	buffer_load_dword v27, s[8:11], 0 offen lds                // 000000003748: E0511000 8002001B
	s_add_u32 s31, 0x100, s33                                  // 000000003750: 801F21FF 00000100
	s_cmp_lt_u32 s31, s34                                      // 000000003758: BF0A221F
	s_cselect_b32 s41, s41, 0                                  // 00000000375C: 85298029
	s_add_u32 s8, s41, s8                                      // 000000003760: 80080829
	s_addc_u32 s9, 0, s9                                       // 000000003764: 82090980
	s_addk_i32 s33, 0x40                                       // 000000003768: B7210040
	s_cmp_lt_i32 s33, s34                                      // 00000000376C: BF042221
	s_cbranch_scc0 label_0677                                  // 000000003770: BF8402DA
	s_waitcnt vmcnt(12) lgkmcnt(0)                             // 000000003774: BF8C007C
	s_barrier                                                  // 000000003778: BF8A0000
	v_mfma_f32_16x16x16_bf16 v[32:35], a[32:33], a[0:1], v[32:35]// 00000000377C: D3E10020 1C820120
	s_add_u32 m0, 0, s43                                       // 000000003784: 807C2B80
	buffer_load_dword v15, s[4:7], 0 offen lds                 // 000000003788: E0511000 8001000F
	v_mfma_f32_16x16x16_bf16 v[32:35], a[34:35], a[2:3], v[32:35]// 000000003790: D3E10020 1C820522
	s_add_u32 m0, 0x100, s43                                   // 000000003798: 807C2BFF 00000100
	buffer_load_dword v16, s[4:7], 0 offen lds                 // 0000000037A0: E0511000 80010010
	ds_read_b128 a[16:19], v19 offset:8448                     // 0000000037A8: DBFE2100 10000013
	ds_read_b128 a[20:23], v19 offset:8512                     // 0000000037B0: DBFE2140 14000013
	v_mfma_f32_16x16x16_bf16 v[32:35], a[36:37], a[4:5], v[32:35]// 0000000037B8: D3E10020 1C820924
	s_add_u32 m0, 0x200, s43                                   // 0000000037C0: 807C2BFF 00000200
	buffer_load_dword v17, s[4:7], 0 offen lds                 // 0000000037C8: E0511000 80010011
	v_mfma_f32_16x16x16_bf16 v[32:35], a[38:39], a[6:7], v[32:35]// 0000000037D0: D3E10020 1C820D26
	s_add_u32 m0, 0x300, s43                                   // 0000000037D8: 807C2BFF 00000300
	buffer_load_dword v18, s[4:7], 0 offen lds                 // 0000000037E0: E0511000 80010012
	ds_read_b128 a[24:27], v19 offset:8960                     // 0000000037E8: DBFE2300 18000013
	ds_read_b128 a[28:31], v19 offset:9024                     // 0000000037F0: DBFE2340 1C000013
	v_mfma_f32_16x16x16_bf16 v[36:39], a[32:33], a[8:9], v[36:39]// 0000000037F8: D3E10024 1C921120
	s_add_u32 s31, 0x100, s33                                  // 000000003800: 801F21FF 00000100
	s_cmp_lt_u32 s31, s34                                      // 000000003808: BF0A221F
	s_cselect_b32 s40, s40, 0                                  // 00000000380C: 85288028
	s_add_u32 m0, 0, s46                                       // 000000003810: 807C2E80
	buffer_load_dword v20, s[8:11], 0 offen lds                // 000000003814: E0511000 80020014
	v_mfma_f32_16x16x16_bf16 v[36:39], a[34:35], a[10:11], v[36:39]// 00000000381C: D3E10024 1C921522
	s_add_u32 m0, 0x100, s46                                   // 000000003824: 807C2EFF 00000100
	buffer_load_dword v21, s[8:11], 0 offen lds                // 00000000382C: E0511000 80020015
	s_add_u32 s4, s40, s4                                      // 000000003834: 80040428
	s_addc_u32 s5, 0, s5                                       // 000000003838: 82050580
	ds_read_b128 a[40:43], v28 offset:29312                    // 00000000383C: DBFE7280 2800001C
	ds_read_b128 a[44:47], v28 offset:29376                    // 000000003844: DBFE72C0 2C00001C
	v_mfma_f32_16x16x16_bf16 v[36:39], a[36:37], a[12:13], v[36:39]// 00000000384C: D3E10024 1C921924
	s_add_u32 m0, 0x200, s46                                   // 000000003854: 807C2EFF 00000200
	buffer_load_dword v22, s[8:11], 0 offen lds                // 00000000385C: E0511000 80020016
	v_mfma_f32_16x16x16_bf16 v[36:39], a[38:39], a[14:15], v[36:39]// 000000003864: D3E10024 1C921D26
	s_add_u32 m0, 0x300, s46                                   // 00000000386C: 807C2EFF 00000300
	buffer_load_dword v23, s[8:11], 0 offen lds                // 000000003874: E0511000 80020017
	s_add_u32 m0, 0x400, s46                                   // 00000000387C: 807C2EFF 00000400
	buffer_load_dword v24, s[8:11], 0 offen lds                // 000000003884: E0511000 80020018
	s_add_u32 m0, 0x500, s46                                   // 00000000388C: 807C2EFF 00000500
	buffer_load_dword v25, s[8:11], 0 offen lds                // 000000003894: E0511000 80020019
	s_add_u32 m0, 0x600, s46                                   // 00000000389C: 807C2EFF 00000600
	buffer_load_dword v26, s[8:11], 0 offen lds                // 0000000038A4: E0511000 8002001A
	s_add_u32 m0, 0x700, s46                                   // 0000000038AC: 807C2EFF 00000700
	buffer_load_dword v27, s[8:11], 0 offen lds                // 0000000038B4: E0511000 8002001B
	s_add_u32 s31, 0x100, s33                                  // 0000000038BC: 801F21FF 00000100
	s_cmp_lt_u32 s31, s34                                      // 0000000038C4: BF0A221F
	s_cselect_b32 s41, s41, 0                                  // 0000000038C8: 85298029
	s_add_u32 s8, s41, s8                                      // 0000000038CC: 80080829
	s_addc_u32 s9, 0, s9                                       // 0000000038D0: 82090980
	s_addk_i32 s33, 0x40                                       // 0000000038D4: B7210040
	s_cmp_lt_i32 s33, s34                                      // 0000000038D8: BF042221
	s_cbranch_scc0 label_0677                                  // 0000000038DC: BF84027F
	s_waitcnt vmcnt(12) lgkmcnt(0)                             // 0000000038E0: BF8C007C
	s_barrier                                                  // 0000000038E4: BF8A0000
	v_mfma_f32_16x16x16_bf16 v[32:35], a[40:41], a[16:17], v[32:35]// 0000000038E8: D3E10020 1C822128
	s_add_u32 m0, 0, s44                                       // 0000000038F0: 807C2C80
	buffer_load_dword v15, s[4:7], 0 offen lds                 // 0000000038F4: E0511000 8001000F
	v_mfma_f32_16x16x16_bf16 v[32:35], a[42:43], a[18:19], v[32:35]// 0000000038FC: D3E10020 1C82252A
	s_add_u32 m0, 0x100, s44                                   // 000000003904: 807C2CFF 00000100
	buffer_load_dword v16, s[4:7], 0 offen lds                 // 00000000390C: E0511000 80010010
	ds_read_b128 a[0:3], v19                                   // 000000003914: DBFE0000 00000013
	ds_read_b128 a[4:7], v19 offset:64                         // 00000000391C: DBFE0040 04000013
	v_mfma_f32_16x16x16_bf16 v[32:35], a[44:45], a[20:21], v[32:35]// 000000003924: D3E10020 1C82292C
	s_add_u32 m0, 0x200, s44                                   // 00000000392C: 807C2CFF 00000200
	buffer_load_dword v17, s[4:7], 0 offen lds                 // 000000003934: E0511000 80010011
	v_mfma_f32_16x16x16_bf16 v[32:35], a[46:47], a[22:23], v[32:35]// 00000000393C: D3E10020 1C822D2E
	s_add_u32 m0, 0x300, s44                                   // 000000003944: 807C2CFF 00000300
	buffer_load_dword v18, s[4:7], 0 offen lds                 // 00000000394C: E0511000 80010012
	ds_read_b128 a[8:11], v19 offset:512                       // 000000003954: DBFE0200 08000013
	ds_read_b128 a[12:15], v19 offset:576                      // 00000000395C: DBFE0240 0C000013
	v_mfma_f32_16x16x16_bf16 v[36:39], a[40:41], a[24:25], v[36:39]// 000000003964: D3E10024 1C923128
	s_add_u32 s31, 0x100, s33                                  // 00000000396C: 801F21FF 00000100
	s_cmp_lt_u32 s31, s34                                      // 000000003974: BF0A221F
	s_cselect_b32 s40, s40, 0                                  // 000000003978: 85288028
	s_add_u32 m0, 0, s47                                       // 00000000397C: 807C2F80
	buffer_load_dword v20, s[8:11], 0 offen lds                // 000000003980: E0511000 80020014
	v_mfma_f32_16x16x16_bf16 v[36:39], a[42:43], a[26:27], v[36:39]// 000000003988: D3E10024 1C92352A
	s_add_u32 m0, 0x100, s47                                   // 000000003990: 807C2FFF 00000100
	buffer_load_dword v21, s[8:11], 0 offen lds                // 000000003998: E0511000 80020015
	s_add_u32 s4, s40, s4                                      // 0000000039A0: 80040428
	s_addc_u32 s5, 0, s5                                       // 0000000039A4: 82050580
	ds_read_b128 a[32:35], v28 offset:12672                    // 0000000039A8: DBFE3180 2000001C
	ds_read_b128 a[36:39], v28 offset:12736                    // 0000000039B0: DBFE31C0 2400001C
	v_mfma_f32_16x16x16_bf16 v[36:39], a[44:45], a[28:29], v[36:39]// 0000000039B8: D3E10024 1C92392C
	s_add_u32 m0, 0x200, s47                                   // 0000000039C0: 807C2FFF 00000200
	buffer_load_dword v22, s[8:11], 0 offen lds                // 0000000039C8: E0511000 80020016
	v_mfma_f32_16x16x16_bf16 v[36:39], a[46:47], a[30:31], v[36:39]// 0000000039D0: D3E10024 1C923D2E
	s_add_u32 m0, 0x300, s47                                   // 0000000039D8: 807C2FFF 00000300
	buffer_load_dword v23, s[8:11], 0 offen lds                // 0000000039E0: E0511000 80020017
	s_add_u32 m0, 0x400, s47                                   // 0000000039E8: 807C2FFF 00000400
	buffer_load_dword v24, s[8:11], 0 offen lds                // 0000000039F0: E0511000 80020018
	s_add_u32 m0, 0x500, s47                                   // 0000000039F8: 807C2FFF 00000500
	buffer_load_dword v25, s[8:11], 0 offen lds                // 000000003A00: E0511000 80020019
	s_add_u32 m0, 0x600, s47                                   // 000000003A08: 807C2FFF 00000600
	buffer_load_dword v26, s[8:11], 0 offen lds                // 000000003A10: E0511000 8002001A
	s_add_u32 m0, 0x700, s47                                   // 000000003A18: 807C2FFF 00000700
	buffer_load_dword v27, s[8:11], 0 offen lds                // 000000003A20: E0511000 8002001B
	s_add_u32 s31, 0x100, s33                                  // 000000003A28: 801F21FF 00000100
	s_cmp_lt_u32 s31, s34                                      // 000000003A30: BF0A221F
	s_cselect_b32 s41, s41, 0                                  // 000000003A34: 85298029
	s_add_u32 s8, s41, s8                                      // 000000003A38: 80080829
	s_addc_u32 s9, 0, s9                                       // 000000003A3C: 82090980
	s_addk_i32 s33, 0x40                                       // 000000003A40: B7210040
	s_cmp_lt_i32 s33, s34                                      // 000000003A44: BF042221
	s_cbranch_scc0 label_0677                                  // 000000003A48: BF840224
	s_branch label_0231                                        // 000000003A4C: BF82FDDD

0000000000003a50 <label_0454>:
	s_waitcnt vmcnt(12) lgkmcnt(0)                             // 000000003A50: BF8C007C
	s_barrier                                                  // 000000003A54: BF8A0000
	v_mfma_f32_16x16x16_bf16 v[32:35], a[32:33], a[0:1], v[32:35]// 000000003A58: D3E10020 1C820120
	s_add_u32 m0, 0, s42                                       // 000000003A60: 807C2A80
	buffer_load_dword v15, s[4:7], 0 offen lds                 // 000000003A64: E0511000 8001000F
	ds_read_b128 a[16:19], v19 offset:4224                     // 000000003A6C: DBFE1080 10000013
	ds_read_b128 a[20:23], v19 offset:4288                     // 000000003A74: DBFE10C0 14000013
	v_mfma_f32_16x16x16_bf16 v[32:35], a[34:35], a[2:3], v[32:35]// 000000003A7C: D3E10020 1C820522
	s_add_u32 m0, 0x100, s42                                   // 000000003A84: 807C2AFF 00000100
	buffer_load_dword v16, s[4:7], 0 offen lds                 // 000000003A8C: E0511000 80010010
	v_mfma_f32_16x16x16_bf16 v[32:35], a[36:37], a[4:5], v[32:35]// 000000003A94: D3E10020 1C820924
	s_add_u32 m0, 0x200, s42                                   // 000000003A9C: 807C2AFF 00000200
	buffer_load_dword v17, s[4:7], 0 offen lds                 // 000000003AA4: E0511000 80010011
	ds_read_b128 a[24:27], v19 offset:4736                     // 000000003AAC: DBFE1280 18000013
	ds_read_b128 a[28:31], v19 offset:4800                     // 000000003AB4: DBFE12C0 1C000013
	v_mfma_f32_16x16x16_bf16 v[32:35], a[38:39], a[6:7], v[32:35]// 000000003ABC: D3E10020 1C820D26
	s_add_u32 m0, 0x300, s42                                   // 000000003AC4: 807C2AFF 00000300
	buffer_load_dword v18, s[4:7], 0 offen lds                 // 000000003ACC: E0511000 80010012
	v_mfma_f32_16x16x16_bf16 v[36:39], a[32:33], a[8:9], v[36:39]// 000000003AD4: D3E10024 1C921120
	s_add_u32 s31, 0x100, s33                                  // 000000003ADC: 801F21FF 00000100
	s_cmp_lt_u32 s31, s34                                      // 000000003AE4: BF0A221F
	s_cselect_b32 s40, s40, 0                                  // 000000003AE8: 85288028
	s_add_u32 m0, 0, s45                                       // 000000003AEC: 807C2D80
	buffer_load_dword v20, s[8:11], 0 offen lds                // 000000003AF0: E0511000 80020014
	s_add_u32 s4, s40, s4                                      // 000000003AF8: 80040428
	s_addc_u32 s5, 0, s5                                       // 000000003AFC: 82050580
	ds_read_b128 a[40:43], v28 offset:20992                    // 000000003B00: DBFE5200 2800001C
	ds_read_b128 a[44:47], v28 offset:21056                    // 000000003B08: DBFE5240 2C00001C
	v_mfma_f32_16x16x16_bf16 v[36:39], a[34:35], a[10:11], v[36:39]// 000000003B10: D3E10024 1C921522
	s_add_u32 m0, 0x100, s45                                   // 000000003B18: 807C2DFF 00000100
	buffer_load_dword v21, s[8:11], 0 offen lds                // 000000003B20: E0511000 80020015
	v_mfma_f32_16x16x16_bf16 v[36:39], a[36:37], a[12:13], v[36:39]// 000000003B28: D3E10024 1C921924
	s_add_u32 m0, 0x200, s45                                   // 000000003B30: 807C2DFF 00000200
	buffer_load_dword v22, s[8:11], 0 offen lds                // 000000003B38: E0511000 80020016
	v_mfma_f32_16x16x16_bf16 v[36:39], a[38:39], a[14:15], v[36:39]// 000000003B40: D3E10024 1C921D26
	s_add_u32 m0, 0x300, s45                                   // 000000003B48: 807C2DFF 00000300
	buffer_load_dword v23, s[8:11], 0 offen lds                // 000000003B50: E0511000 80020017
	s_add_u32 m0, 0x400, s45                                   // 000000003B58: 807C2DFF 00000400
	buffer_load_dword v24, s[8:11], 0 offen lds                // 000000003B60: E0511000 80020018
	s_add_u32 m0, 0x500, s45                                   // 000000003B68: 807C2DFF 00000500
	buffer_load_dword v25, s[8:11], 0 offen lds                // 000000003B70: E0511000 80020019
	s_add_u32 m0, 0x600, s45                                   // 000000003B78: 807C2DFF 00000600
	buffer_load_dword v26, s[8:11], 0 offen lds                // 000000003B80: E0511000 8002001A
	s_add_u32 m0, 0x700, s45                                   // 000000003B88: 807C2DFF 00000700
	buffer_load_dword v27, s[8:11], 0 offen lds                // 000000003B90: E0511000 8002001B
	s_add_u32 s31, 0x100, s33                                  // 000000003B98: 801F21FF 00000100
	s_cmp_lt_u32 s31, s34                                      // 000000003BA0: BF0A221F
	s_cselect_b32 s41, s41, 0                                  // 000000003BA4: 85298029
	s_add_u32 s8, s41, s8                                      // 000000003BA8: 80080829
	s_addc_u32 s9, 0, s9                                       // 000000003BAC: 82090980
	s_addk_i32 s33, 0x40                                       // 000000003BB0: B7210040
	s_cmp_lt_i32 s33, s34                                      // 000000003BB4: BF042221
	s_cbranch_scc0 label_0677                                  // 000000003BB8: BF8401C8
	s_waitcnt vmcnt(12) lgkmcnt(0)                             // 000000003BBC: BF8C007C
	s_barrier                                                  // 000000003BC0: BF8A0000
	v_mfma_f32_16x16x16_bf16 v[32:35], a[40:41], a[16:17], v[32:35]// 000000003BC4: D3E10020 1C822128
	s_add_u32 m0, 0, s43                                       // 000000003BCC: 807C2B80
	buffer_load_dword v15, s[4:7], 0 offen lds                 // 000000003BD0: E0511000 8001000F
	ds_read_b128 a[0:3], v19 offset:8448                       // 000000003BD8: DBFE2100 00000013
	ds_read_b128 a[4:7], v19 offset:8512                       // 000000003BE0: DBFE2140 04000013
	v_mfma_f32_16x16x16_bf16 v[32:35], a[42:43], a[18:19], v[32:35]// 000000003BE8: D3E10020 1C82252A
	s_add_u32 m0, 0x100, s43                                   // 000000003BF0: 807C2BFF 00000100
	buffer_load_dword v16, s[4:7], 0 offen lds                 // 000000003BF8: E0511000 80010010
	v_mfma_f32_16x16x16_bf16 v[32:35], a[44:45], a[20:21], v[32:35]// 000000003C00: D3E10020 1C82292C
	s_add_u32 m0, 0x200, s43                                   // 000000003C08: 807C2BFF 00000200
	buffer_load_dword v17, s[4:7], 0 offen lds                 // 000000003C10: E0511000 80010011
	ds_read_b128 a[8:11], v19 offset:8960                      // 000000003C18: DBFE2300 08000013
	ds_read_b128 a[12:15], v19 offset:9024                     // 000000003C20: DBFE2340 0C000013
	v_mfma_f32_16x16x16_bf16 v[32:35], a[46:47], a[22:23], v[32:35]// 000000003C28: D3E10020 1C822D2E
	s_add_u32 m0, 0x300, s43                                   // 000000003C30: 807C2BFF 00000300
	buffer_load_dword v18, s[4:7], 0 offen lds                 // 000000003C38: E0511000 80010012
	v_mfma_f32_16x16x16_bf16 v[36:39], a[40:41], a[24:25], v[36:39]// 000000003C40: D3E10024 1C923128
	s_add_u32 s31, 0x100, s33                                  // 000000003C48: 801F21FF 00000100
	s_cmp_lt_u32 s31, s34                                      // 000000003C50: BF0A221F
	s_cselect_b32 s40, s40, 0                                  // 000000003C54: 85288028
	s_add_u32 m0, 0, s46                                       // 000000003C58: 807C2E80
	buffer_load_dword v20, s[8:11], 0 offen lds                // 000000003C5C: E0511000 80020014
	s_add_u32 s4, s40, s4                                      // 000000003C64: 80040428
	s_addc_u32 s5, 0, s5                                       // 000000003C68: 82050580
	ds_read_b128 a[32:35], v28 offset:29312                    // 000000003C6C: DBFE7280 2000001C
	ds_read_b128 a[36:39], v28 offset:29376                    // 000000003C74: DBFE72C0 2400001C
	v_mfma_f32_16x16x16_bf16 v[36:39], a[42:43], a[26:27], v[36:39]// 000000003C7C: D3E10024 1C92352A
	s_add_u32 m0, 0x100, s46                                   // 000000003C84: 807C2EFF 00000100
	buffer_load_dword v21, s[8:11], 0 offen lds                // 000000003C8C: E0511000 80020015
	v_mfma_f32_16x16x16_bf16 v[36:39], a[44:45], a[28:29], v[36:39]// 000000003C94: D3E10024 1C92392C
	s_add_u32 m0, 0x200, s46                                   // 000000003C9C: 807C2EFF 00000200
	buffer_load_dword v22, s[8:11], 0 offen lds                // 000000003CA4: E0511000 80020016
	v_mfma_f32_16x16x16_bf16 v[36:39], a[46:47], a[30:31], v[36:39]// 000000003CAC: D3E10024 1C923D2E
	s_add_u32 m0, 0x300, s46                                   // 000000003CB4: 807C2EFF 00000300
	buffer_load_dword v23, s[8:11], 0 offen lds                // 000000003CBC: E0511000 80020017
	s_add_u32 m0, 0x400, s46                                   // 000000003CC4: 807C2EFF 00000400
	buffer_load_dword v24, s[8:11], 0 offen lds                // 000000003CCC: E0511000 80020018
	s_add_u32 m0, 0x500, s46                                   // 000000003CD4: 807C2EFF 00000500
	buffer_load_dword v25, s[8:11], 0 offen lds                // 000000003CDC: E0511000 80020019
	s_add_u32 m0, 0x600, s46                                   // 000000003CE4: 807C2EFF 00000600
	buffer_load_dword v26, s[8:11], 0 offen lds                // 000000003CEC: E0511000 8002001A
	s_add_u32 m0, 0x700, s46                                   // 000000003CF4: 807C2EFF 00000700
	buffer_load_dword v27, s[8:11], 0 offen lds                // 000000003CFC: E0511000 8002001B
	s_add_u32 s31, 0x100, s33                                  // 000000003D04: 801F21FF 00000100
	s_cmp_lt_u32 s31, s34                                      // 000000003D0C: BF0A221F
	s_cselect_b32 s41, s41, 0                                  // 000000003D10: 85298029
	s_add_u32 s8, s41, s8                                      // 000000003D14: 80080829
	s_addc_u32 s9, 0, s9                                       // 000000003D18: 82090980
	s_addk_i32 s33, 0x40                                       // 000000003D1C: B7210040
	s_cmp_lt_i32 s33, s34                                      // 000000003D20: BF042221
	s_cbranch_scc0 label_0677                                  // 000000003D24: BF84016D
	s_waitcnt vmcnt(12) lgkmcnt(0)                             // 000000003D28: BF8C007C
	s_barrier                                                  // 000000003D2C: BF8A0000
	v_mfma_f32_16x16x16_bf16 v[32:35], a[32:33], a[0:1], v[32:35]// 000000003D30: D3E10020 1C820120
	s_add_u32 m0, 0, s44                                       // 000000003D38: 807C2C80
	buffer_load_dword v15, s[4:7], 0 offen lds                 // 000000003D3C: E0511000 8001000F
	ds_read_b128 a[16:19], v19                                 // 000000003D44: DBFE0000 10000013
	ds_read_b128 a[20:23], v19 offset:64                       // 000000003D4C: DBFE0040 14000013
	v_mfma_f32_16x16x16_bf16 v[32:35], a[34:35], a[2:3], v[32:35]// 000000003D54: D3E10020 1C820522
	s_add_u32 m0, 0x100, s44                                   // 000000003D5C: 807C2CFF 00000100
	buffer_load_dword v16, s[4:7], 0 offen lds                 // 000000003D64: E0511000 80010010
	v_mfma_f32_16x16x16_bf16 v[32:35], a[36:37], a[4:5], v[32:35]// 000000003D6C: D3E10020 1C820924
	s_add_u32 m0, 0x200, s44                                   // 000000003D74: 807C2CFF 00000200
	buffer_load_dword v17, s[4:7], 0 offen lds                 // 000000003D7C: E0511000 80010011
	ds_read_b128 a[24:27], v19 offset:512                      // 000000003D84: DBFE0200 18000013
	ds_read_b128 a[28:31], v19 offset:576                      // 000000003D8C: DBFE0240 1C000013
	v_mfma_f32_16x16x16_bf16 v[32:35], a[38:39], a[6:7], v[32:35]// 000000003D94: D3E10020 1C820D26
	s_add_u32 m0, 0x300, s44                                   // 000000003D9C: 807C2CFF 00000300
	buffer_load_dword v18, s[4:7], 0 offen lds                 // 000000003DA4: E0511000 80010012
	v_mfma_f32_16x16x16_bf16 v[36:39], a[32:33], a[8:9], v[36:39]// 000000003DAC: D3E10024 1C921120
	s_add_u32 s31, 0x100, s33                                  // 000000003DB4: 801F21FF 00000100
	s_cmp_lt_u32 s31, s34                                      // 000000003DBC: BF0A221F
	s_cselect_b32 s40, s40, 0                                  // 000000003DC0: 85288028
	s_add_u32 m0, 0, s47                                       // 000000003DC4: 807C2F80
	buffer_load_dword v20, s[8:11], 0 offen lds                // 000000003DC8: E0511000 80020014
	s_add_u32 s4, s40, s4                                      // 000000003DD0: 80040428
	s_addc_u32 s5, 0, s5                                       // 000000003DD4: 82050580
	ds_read_b128 a[40:43], v28 offset:12672                    // 000000003DD8: DBFE3180 2800001C
	ds_read_b128 a[44:47], v28 offset:12736                    // 000000003DE0: DBFE31C0 2C00001C
	v_mfma_f32_16x16x16_bf16 v[36:39], a[34:35], a[10:11], v[36:39]// 000000003DE8: D3E10024 1C921522
	s_add_u32 m0, 0x100, s47                                   // 000000003DF0: 807C2FFF 00000100
	buffer_load_dword v21, s[8:11], 0 offen lds                // 000000003DF8: E0511000 80020015
	v_mfma_f32_16x16x16_bf16 v[36:39], a[36:37], a[12:13], v[36:39]// 000000003E00: D3E10024 1C921924
	s_add_u32 m0, 0x200, s47                                   // 000000003E08: 807C2FFF 00000200
	buffer_load_dword v22, s[8:11], 0 offen lds                // 000000003E10: E0511000 80020016
	v_mfma_f32_16x16x16_bf16 v[36:39], a[38:39], a[14:15], v[36:39]// 000000003E18: D3E10024 1C921D26
	s_add_u32 m0, 0x300, s47                                   // 000000003E20: 807C2FFF 00000300
	buffer_load_dword v23, s[8:11], 0 offen lds                // 000000003E28: E0511000 80020017
	s_add_u32 m0, 0x400, s47                                   // 000000003E30: 807C2FFF 00000400
	buffer_load_dword v24, s[8:11], 0 offen lds                // 000000003E38: E0511000 80020018
	s_add_u32 m0, 0x500, s47                                   // 000000003E40: 807C2FFF 00000500
	buffer_load_dword v25, s[8:11], 0 offen lds                // 000000003E48: E0511000 80020019
	s_add_u32 m0, 0x600, s47                                   // 000000003E50: 807C2FFF 00000600
	buffer_load_dword v26, s[8:11], 0 offen lds                // 000000003E58: E0511000 8002001A
	s_add_u32 m0, 0x700, s47                                   // 000000003E60: 807C2FFF 00000700
	buffer_load_dword v27, s[8:11], 0 offen lds                // 000000003E68: E0511000 8002001B
	s_add_u32 s31, 0x100, s33                                  // 000000003E70: 801F21FF 00000100
	s_cmp_lt_u32 s31, s34                                      // 000000003E78: BF0A221F
	s_cselect_b32 s41, s41, 0                                  // 000000003E7C: 85298029
	s_add_u32 s8, s41, s8                                      // 000000003E80: 80080829
	s_addc_u32 s9, 0, s9                                       // 000000003E84: 82090980
	s_addk_i32 s33, 0x40                                       // 000000003E88: B7210040
	s_cmp_lt_i32 s33, s34                                      // 000000003E8C: BF042221
	s_cbranch_scc0 label_0677                                  // 000000003E90: BF840112
	s_waitcnt vmcnt(12) lgkmcnt(0)                             // 000000003E94: BF8C007C
	s_barrier                                                  // 000000003E98: BF8A0000
	v_mfma_f32_16x16x16_bf16 v[32:35], a[40:41], a[16:17], v[32:35]// 000000003E9C: D3E10020 1C822128
	s_add_u32 m0, 0, s42                                       // 000000003EA4: 807C2A80
	buffer_load_dword v15, s[4:7], 0 offen lds                 // 000000003EA8: E0511000 8001000F
	ds_read_b128 a[0:3], v19 offset:4224                       // 000000003EB0: DBFE1080 00000013
	ds_read_b128 a[4:7], v19 offset:4288                       // 000000003EB8: DBFE10C0 04000013
	v_mfma_f32_16x16x16_bf16 v[32:35], a[42:43], a[18:19], v[32:35]// 000000003EC0: D3E10020 1C82252A
	s_add_u32 m0, 0x100, s42                                   // 000000003EC8: 807C2AFF 00000100
	buffer_load_dword v16, s[4:7], 0 offen lds                 // 000000003ED0: E0511000 80010010
	v_mfma_f32_16x16x16_bf16 v[32:35], a[44:45], a[20:21], v[32:35]// 000000003ED8: D3E10020 1C82292C
	s_add_u32 m0, 0x200, s42                                   // 000000003EE0: 807C2AFF 00000200
	buffer_load_dword v17, s[4:7], 0 offen lds                 // 000000003EE8: E0511000 80010011
	ds_read_b128 a[8:11], v19 offset:4736                      // 000000003EF0: DBFE1280 08000013
	ds_read_b128 a[12:15], v19 offset:4800                     // 000000003EF8: DBFE12C0 0C000013
	v_mfma_f32_16x16x16_bf16 v[32:35], a[46:47], a[22:23], v[32:35]// 000000003F00: D3E10020 1C822D2E
	s_add_u32 m0, 0x300, s42                                   // 000000003F08: 807C2AFF 00000300
	buffer_load_dword v18, s[4:7], 0 offen lds                 // 000000003F10: E0511000 80010012
	v_mfma_f32_16x16x16_bf16 v[36:39], a[40:41], a[24:25], v[36:39]// 000000003F18: D3E10024 1C923128
	s_add_u32 s31, 0x100, s33                                  // 000000003F20: 801F21FF 00000100
	s_cmp_lt_u32 s31, s34                                      // 000000003F28: BF0A221F
	s_cselect_b32 s40, s40, 0                                  // 000000003F2C: 85288028
	s_add_u32 m0, 0, s45                                       // 000000003F30: 807C2D80
	buffer_load_dword v20, s[8:11], 0 offen lds                // 000000003F34: E0511000 80020014
	s_add_u32 s4, s40, s4                                      // 000000003F3C: 80040428
	s_addc_u32 s5, 0, s5                                       // 000000003F40: 82050580
	ds_read_b128 a[32:35], v28 offset:20992                    // 000000003F44: DBFE5200 2000001C
	ds_read_b128 a[36:39], v28 offset:21056                    // 000000003F4C: DBFE5240 2400001C
	v_mfma_f32_16x16x16_bf16 v[36:39], a[42:43], a[26:27], v[36:39]// 000000003F54: D3E10024 1C92352A
	s_add_u32 m0, 0x100, s45                                   // 000000003F5C: 807C2DFF 00000100
	buffer_load_dword v21, s[8:11], 0 offen lds                // 000000003F64: E0511000 80020015
	v_mfma_f32_16x16x16_bf16 v[36:39], a[44:45], a[28:29], v[36:39]// 000000003F6C: D3E10024 1C92392C
	s_add_u32 m0, 0x200, s45                                   // 000000003F74: 807C2DFF 00000200
	buffer_load_dword v22, s[8:11], 0 offen lds                // 000000003F7C: E0511000 80020016
	v_mfma_f32_16x16x16_bf16 v[36:39], a[46:47], a[30:31], v[36:39]// 000000003F84: D3E10024 1C923D2E
	s_add_u32 m0, 0x300, s45                                   // 000000003F8C: 807C2DFF 00000300
	buffer_load_dword v23, s[8:11], 0 offen lds                // 000000003F94: E0511000 80020017
	s_add_u32 m0, 0x400, s45                                   // 000000003F9C: 807C2DFF 00000400
	buffer_load_dword v24, s[8:11], 0 offen lds                // 000000003FA4: E0511000 80020018
	s_add_u32 m0, 0x500, s45                                   // 000000003FAC: 807C2DFF 00000500
	buffer_load_dword v25, s[8:11], 0 offen lds                // 000000003FB4: E0511000 80020019
	s_add_u32 m0, 0x600, s45                                   // 000000003FBC: 807C2DFF 00000600
	buffer_load_dword v26, s[8:11], 0 offen lds                // 000000003FC4: E0511000 8002001A
	s_add_u32 m0, 0x700, s45                                   // 000000003FCC: 807C2DFF 00000700
	buffer_load_dword v27, s[8:11], 0 offen lds                // 000000003FD4: E0511000 8002001B
	s_add_u32 s31, 0x100, s33                                  // 000000003FDC: 801F21FF 00000100
	s_cmp_lt_u32 s31, s34                                      // 000000003FE4: BF0A221F
	s_cselect_b32 s41, s41, 0                                  // 000000003FE8: 85298029
	s_add_u32 s8, s41, s8                                      // 000000003FEC: 80080829
	s_addc_u32 s9, 0, s9                                       // 000000003FF0: 82090980
	s_addk_i32 s33, 0x40                                       // 000000003FF4: B7210040
	s_cmp_lt_i32 s33, s34                                      // 000000003FF8: BF042221
	s_cbranch_scc0 label_0677                                  // 000000003FFC: BF8400B7
	s_waitcnt vmcnt(12) lgkmcnt(0)                             // 000000004000: BF8C007C
	s_barrier                                                  // 000000004004: BF8A0000
	v_mfma_f32_16x16x16_bf16 v[32:35], a[32:33], a[0:1], v[32:35]// 000000004008: D3E10020 1C820120
	s_add_u32 m0, 0, s43                                       // 000000004010: 807C2B80
	buffer_load_dword v15, s[4:7], 0 offen lds                 // 000000004014: E0511000 8001000F
	ds_read_b128 a[16:19], v19 offset:8448                     // 00000000401C: DBFE2100 10000013
	ds_read_b128 a[20:23], v19 offset:8512                     // 000000004024: DBFE2140 14000013
	v_mfma_f32_16x16x16_bf16 v[32:35], a[34:35], a[2:3], v[32:35]// 00000000402C: D3E10020 1C820522
	s_add_u32 m0, 0x100, s43                                   // 000000004034: 807C2BFF 00000100
	buffer_load_dword v16, s[4:7], 0 offen lds                 // 00000000403C: E0511000 80010010
	v_mfma_f32_16x16x16_bf16 v[32:35], a[36:37], a[4:5], v[32:35]// 000000004044: D3E10020 1C820924
	s_add_u32 m0, 0x200, s43                                   // 00000000404C: 807C2BFF 00000200
	buffer_load_dword v17, s[4:7], 0 offen lds                 // 000000004054: E0511000 80010011
	ds_read_b128 a[24:27], v19 offset:8960                     // 00000000405C: DBFE2300 18000013
	ds_read_b128 a[28:31], v19 offset:9024                     // 000000004064: DBFE2340 1C000013
	v_mfma_f32_16x16x16_bf16 v[32:35], a[38:39], a[6:7], v[32:35]// 00000000406C: D3E10020 1C820D26
	s_add_u32 m0, 0x300, s43                                   // 000000004074: 807C2BFF 00000300
	buffer_load_dword v18, s[4:7], 0 offen lds                 // 00000000407C: E0511000 80010012
	v_mfma_f32_16x16x16_bf16 v[36:39], a[32:33], a[8:9], v[36:39]// 000000004084: D3E10024 1C921120
	s_add_u32 s31, 0x100, s33                                  // 00000000408C: 801F21FF 00000100
	s_cmp_lt_u32 s31, s34                                      // 000000004094: BF0A221F
	s_cselect_b32 s40, s40, 0                                  // 000000004098: 85288028
	s_add_u32 m0, 0, s46                                       // 00000000409C: 807C2E80
	buffer_load_dword v20, s[8:11], 0 offen lds                // 0000000040A0: E0511000 80020014
	s_add_u32 s4, s40, s4                                      // 0000000040A8: 80040428
	s_addc_u32 s5, 0, s5                                       // 0000000040AC: 82050580
	ds_read_b128 a[40:43], v28 offset:29312                    // 0000000040B0: DBFE7280 2800001C
	ds_read_b128 a[44:47], v28 offset:29376                    // 0000000040B8: DBFE72C0 2C00001C
	v_mfma_f32_16x16x16_bf16 v[36:39], a[34:35], a[10:11], v[36:39]// 0000000040C0: D3E10024 1C921522
	s_add_u32 m0, 0x100, s46                                   // 0000000040C8: 807C2EFF 00000100
	buffer_load_dword v21, s[8:11], 0 offen lds                // 0000000040D0: E0511000 80020015
	v_mfma_f32_16x16x16_bf16 v[36:39], a[36:37], a[12:13], v[36:39]// 0000000040D8: D3E10024 1C921924
	s_add_u32 m0, 0x200, s46                                   // 0000000040E0: 807C2EFF 00000200
	buffer_load_dword v22, s[8:11], 0 offen lds                // 0000000040E8: E0511000 80020016
	v_mfma_f32_16x16x16_bf16 v[36:39], a[38:39], a[14:15], v[36:39]// 0000000040F0: D3E10024 1C921D26
	s_add_u32 m0, 0x300, s46                                   // 0000000040F8: 807C2EFF 00000300
	buffer_load_dword v23, s[8:11], 0 offen lds                // 000000004100: E0511000 80020017
	s_add_u32 m0, 0x400, s46                                   // 000000004108: 807C2EFF 00000400
	buffer_load_dword v24, s[8:11], 0 offen lds                // 000000004110: E0511000 80020018
	s_add_u32 m0, 0x500, s46                                   // 000000004118: 807C2EFF 00000500
	;; [unrolled: 2-line block ×3, first 2 shown]
	buffer_load_dword v26, s[8:11], 0 offen lds                // 000000004130: E0511000 8002001A
	s_add_u32 m0, 0x700, s46                                   // 000000004138: 807C2EFF 00000700
	buffer_load_dword v27, s[8:11], 0 offen lds                // 000000004140: E0511000 8002001B
	s_add_u32 s31, 0x100, s33                                  // 000000004148: 801F21FF 00000100
	s_cmp_lt_u32 s31, s34                                      // 000000004150: BF0A221F
	s_cselect_b32 s41, s41, 0                                  // 000000004154: 85298029
	s_add_u32 s8, s41, s8                                      // 000000004158: 80080829
	s_addc_u32 s9, 0, s9                                       // 00000000415C: 82090980
	s_addk_i32 s33, 0x40                                       // 000000004160: B7210040
	s_cmp_lt_i32 s33, s34                                      // 000000004164: BF042221
	s_cbranch_scc0 label_0677                                  // 000000004168: BF84005C
	s_waitcnt vmcnt(12) lgkmcnt(0)                             // 00000000416C: BF8C007C
	s_barrier                                                  // 000000004170: BF8A0000
	v_mfma_f32_16x16x16_bf16 v[32:35], a[40:41], a[16:17], v[32:35]// 000000004174: D3E10020 1C822128
	s_add_u32 m0, 0, s44                                       // 00000000417C: 807C2C80
	buffer_load_dword v15, s[4:7], 0 offen lds                 // 000000004180: E0511000 8001000F
	ds_read_b128 a[0:3], v19                                   // 000000004188: DBFE0000 00000013
	ds_read_b128 a[4:7], v19 offset:64                         // 000000004190: DBFE0040 04000013
	v_mfma_f32_16x16x16_bf16 v[32:35], a[42:43], a[18:19], v[32:35]// 000000004198: D3E10020 1C82252A
	s_add_u32 m0, 0x100, s44                                   // 0000000041A0: 807C2CFF 00000100
	buffer_load_dword v16, s[4:7], 0 offen lds                 // 0000000041A8: E0511000 80010010
	v_mfma_f32_16x16x16_bf16 v[32:35], a[44:45], a[20:21], v[32:35]// 0000000041B0: D3E10020 1C82292C
	s_add_u32 m0, 0x200, s44                                   // 0000000041B8: 807C2CFF 00000200
	buffer_load_dword v17, s[4:7], 0 offen lds                 // 0000000041C0: E0511000 80010011
	ds_read_b128 a[8:11], v19 offset:512                       // 0000000041C8: DBFE0200 08000013
	ds_read_b128 a[12:15], v19 offset:576                      // 0000000041D0: DBFE0240 0C000013
	v_mfma_f32_16x16x16_bf16 v[32:35], a[46:47], a[22:23], v[32:35]// 0000000041D8: D3E10020 1C822D2E
	s_add_u32 m0, 0x300, s44                                   // 0000000041E0: 807C2CFF 00000300
	buffer_load_dword v18, s[4:7], 0 offen lds                 // 0000000041E8: E0511000 80010012
	v_mfma_f32_16x16x16_bf16 v[36:39], a[40:41], a[24:25], v[36:39]// 0000000041F0: D3E10024 1C923128
	s_add_u32 s31, 0x100, s33                                  // 0000000041F8: 801F21FF 00000100
	s_cmp_lt_u32 s31, s34                                      // 000000004200: BF0A221F
	s_cselect_b32 s40, s40, 0                                  // 000000004204: 85288028
	s_add_u32 m0, 0, s47                                       // 000000004208: 807C2F80
	buffer_load_dword v20, s[8:11], 0 offen lds                // 00000000420C: E0511000 80020014
	s_add_u32 s4, s40, s4                                      // 000000004214: 80040428
	s_addc_u32 s5, 0, s5                                       // 000000004218: 82050580
	ds_read_b128 a[32:35], v28 offset:12672                    // 00000000421C: DBFE3180 2000001C
	ds_read_b128 a[36:39], v28 offset:12736                    // 000000004224: DBFE31C0 2400001C
	v_mfma_f32_16x16x16_bf16 v[36:39], a[42:43], a[26:27], v[36:39]// 00000000422C: D3E10024 1C92352A
	s_add_u32 m0, 0x100, s47                                   // 000000004234: 807C2FFF 00000100
	buffer_load_dword v21, s[8:11], 0 offen lds                // 00000000423C: E0511000 80020015
	v_mfma_f32_16x16x16_bf16 v[36:39], a[44:45], a[28:29], v[36:39]// 000000004244: D3E10024 1C92392C
	s_add_u32 m0, 0x200, s47                                   // 00000000424C: 807C2FFF 00000200
	buffer_load_dword v22, s[8:11], 0 offen lds                // 000000004254: E0511000 80020016
	v_mfma_f32_16x16x16_bf16 v[36:39], a[46:47], a[30:31], v[36:39]// 00000000425C: D3E10024 1C923D2E
	s_add_u32 m0, 0x300, s47                                   // 000000004264: 807C2FFF 00000300
	buffer_load_dword v23, s[8:11], 0 offen lds                // 00000000426C: E0511000 80020017
	s_add_u32 m0, 0x400, s47                                   // 000000004274: 807C2FFF 00000400
	buffer_load_dword v24, s[8:11], 0 offen lds                // 00000000427C: E0511000 80020018
	s_add_u32 m0, 0x500, s47                                   // 000000004284: 807C2FFF 00000500
	buffer_load_dword v25, s[8:11], 0 offen lds                // 00000000428C: E0511000 80020019
	s_add_u32 m0, 0x600, s47                                   // 000000004294: 807C2FFF 00000600
	buffer_load_dword v26, s[8:11], 0 offen lds                // 00000000429C: E0511000 8002001A
	s_add_u32 m0, 0x700, s47                                   // 0000000042A4: 807C2FFF 00000700
	buffer_load_dword v27, s[8:11], 0 offen lds                // 0000000042AC: E0511000 8002001B
	s_add_u32 s31, 0x100, s33                                  // 0000000042B4: 801F21FF 00000100
	s_cmp_lt_u32 s31, s34                                      // 0000000042BC: BF0A221F
	s_cselect_b32 s41, s41, 0                                  // 0000000042C0: 85298029
	s_add_u32 s8, s41, s8                                      // 0000000042C4: 80080829
	s_addc_u32 s9, 0, s9                                       // 0000000042C8: 82090980
	s_addk_i32 s33, 0x40                                       // 0000000042CC: B7210040
	s_cmp_lt_i32 s33, s34                                      // 0000000042D0: BF042221
	s_cbranch_scc0 label_0677                                  // 0000000042D4: BF840001
	s_branch label_0454                                        // 0000000042D8: BF82FDDD

00000000000042dc <label_0677>:
	s_cmp_le_u32 s48, 1                                        // 0000000042DC: BF0B8130
	s_cbranch_scc1 label_086E                                  // 0000000042E0: BF8501F5
	s_mov_b32 s31, 32                                          // 0000000042E4: BE9F00A0
	s_cmp_lt_u32 s51, s31                                      // 0000000042E8: BF0A1F33
	s_cbranch_scc1 label_0741                                  // 0000000042EC: BF8500C5
	v_mov_b32_e32 v5, 0                                        // 0000000042F0: 7E0A0280
	s_and_b32 s17, s17, 0xffff                                 // 0000000042F4: 8611FF11 0000FFFF
	s_cmp_lt_u32 s50, 1                                        // 0000000042FC: BF0A8132
	s_cbranch_scc0 label_06D0                                  // 000000004300: BF84004F
	v_lshrrev_b32_e32 v4, 4, v0                                // 000000004304: 20080084
	v_mul_u32_u24_e32 v19, 0x44, v4                            // 000000004308: 102608FF 00000044
	v_and_b32_e32 v4, 15, v0                                   // 000000004310: 2608008F
	v_mul_lo_u32 v5, 4, v4                                     // 000000004314: D2850005 00020884
	v_add_u32_e32 v19, v5, v19                                 // 00000000431C: 68262705
	s_mul_i32 s31, s24, 0x110                                  // 000000004320: 921FFF18 00000110
	v_add_u32_e32 v19, s31, v19                                // 000000004328: 6826261F
	v_lshlrev_b32_e32 v19, 2, v19                              // 00000000432C: 24262682
	v_lshrrev_b32_e32 v4, 2, v0                                // 000000004330: 20080082
	v_mul_u32_u24_e32 v28, 0x44, v4                            // 000000004334: 103808FF 00000044
	v_and_b32_e32 v4, 3, v0                                    // 00000000433C: 26080083
	v_add_u32_e32 v28, v4, v28                                 // 000000004340: 68383904
	s_mul_i32 s31, s24, 4                                      // 000000004344: 921F8418
	v_add_u32_e32 v28, s31, v28                                // 000000004348: 6838381F
	v_lshlrev_b32_e32 v28, 2, v28                              // 00000000434C: 24383882
	s_waitcnt vmcnt(0) expcnt(0) lgkmcnt(0)                    // 000000004350: BF8C0000
	s_barrier                                                  // 000000004354: BF8A0000
	ds_write_b128 v19, v[32:35]                                // 000000004358: D9BE0000 00002013
	ds_write_b128 v19, v[36:39] offset:4352                    // 000000004360: D9BE1100 00002413
	s_waitcnt lgkmcnt(0)                                       // 000000004368: BF8CC07F
	s_barrier                                                  // 00000000436C: BF8A0000
	ds_read_b32 v32, v28                                       // 000000004370: D86C0000 2000001C
	ds_read_b32 v33, v28 offset:64                             // 000000004378: D86C0040 2100001C
	ds_read_b32 v34, v28 offset:128                            // 000000004380: D86C0080 2200001C
	ds_read_b32 v35, v28 offset:192                            // 000000004388: D86C00C0 2300001C
	ds_read_b32 v36, v28 offset:4352                           // 000000004390: D86C1100 2400001C
	ds_read_b32 v37, v28 offset:4416                           // 000000004398: D86C1140 2500001C
	ds_read_b32 v38, v28 offset:4480                           // 0000000043A0: D86C1180 2600001C
	ds_read_b32 v39, v28 offset:4544                           // 0000000043A8: D86C11C0 2700001C
	s_waitcnt lgkmcnt(0)                                       // 0000000043B0: BF8CC07F
	s_mul_i32 s31, s30, 4                                      // 0000000043B4: 921F841E
	v_mov_b32_e32 v4, v14                                      // 0000000043B8: 7E08030E
	global_atomic_add_f32 v4, v32, s[16:17]                    // 0000000043BC: DD348000 00102004
	v_add_u32_e64 v4, v4, s31                                  // 0000000043C4: D1340004 00003F04
	global_atomic_add_f32 v4, v33, s[16:17]                    // 0000000043CC: DD348000 00102104
	v_add_u32_e64 v4, v4, s31                                  // 0000000043D4: D1340004 00003F04
	global_atomic_add_f32 v4, v34, s[16:17]                    // 0000000043DC: DD348000 00102204
	v_add_u32_e64 v4, v4, s31                                  // 0000000043E4: D1340004 00003F04
	global_atomic_add_f32 v4, v35, s[16:17]                    // 0000000043EC: DD348000 00102304
	v_add_u32_e64 v4, v4, s31                                  // 0000000043F4: D1340004 00003F04
	global_atomic_add_f32 v4, v36, s[16:17]                    // 0000000043FC: DD348000 00102404
	v_add_u32_e64 v4, v4, s31                                  // 000000004404: D1340004 00003F04
	global_atomic_add_f32 v4, v37, s[16:17]                    // 00000000440C: DD348000 00102504
	v_add_u32_e64 v4, v4, s31                                  // 000000004414: D1340004 00003F04
	global_atomic_add_f32 v4, v38, s[16:17]                    // 00000000441C: DD348000 00102604
	v_add_u32_e64 v4, v4, s31                                  // 000000004424: D1340004 00003F04
	global_atomic_add_f32 v4, v39, s[16:17]                    // 00000000442C: DD348000 00102704
	v_add_u32_e64 v4, v4, s31                                  // 000000004434: D1340004 00003F04
	s_branch label_08B1                                        // 00000000443C: BF8201E1

0000000000004440 <label_06D0>:
	v_lshrrev_b32_e32 v4, 4, v0                                // 000000004440: 20080084
	v_mul_u32_u24_e32 v19, 34, v4                              // 000000004444: 102608A2
	v_and_b32_e32 v4, 15, v0                                   // 000000004448: 2608008F
	v_mul_lo_u32 v5, 2, v4                                     // 00000000444C: D2850005 00020882
	v_add_u32_e32 v19, v5, v19                                 // 000000004454: 68262705
	s_mul_i32 s31, s24, 0x88                                   // 000000004458: 921FFF18 00000088
	v_add_u32_e32 v19, s31, v19                                // 000000004460: 6826261F
	v_lshlrev_b32_e32 v19, 2, v19                              // 000000004464: 24262682
	v_and_b32_e32 v4, 31, v0                                   // 000000004468: 2608009F
	v_lshrrev_b32_e32 v5, 1, v4                                // 00000000446C: 200A0881
	v_mul_u32_u24_e32 v28, 34, v5                              // 000000004470: 10380AA2
	v_and_b32_e32 v5, 1, v4                                    // 000000004474: 260A0881
	v_add_u32_e32 v28, v5, v28                                 // 000000004478: 68383905
	v_lshrrev_b32_e32 v4, 5, v0                                // 00000000447C: 20080085
	v_mul_u32_u24_e32 v4, 8, v4                                // 000000004480: 10080888
	v_add_u32_e32 v28, v4, v28                                 // 000000004484: 68383904
	s_mul_i32 s31, s24, 2                                      // 000000004488: 921F8218
	v_add_u32_e32 v28, s31, v28                                // 00000000448C: 6838381F
	v_lshlrev_b32_e32 v28, 2, v28                              // 000000004490: 24383882
	s_waitcnt vmcnt(0) expcnt(0) lgkmcnt(0)                    // 000000004494: BF8C0000
	s_barrier                                                  // 000000004498: BF8A0000
	v_cmp_u_f32_e64 s[56:57], v32, v32                         // 00000000449C: D0480038 00024120
	v_add3_u32 v8, v32, v11, 1                                 // 0000000044A4: D1FF0008 02061720
	v_cndmask_b32_e64 v4, v8, v10, s[56:57]                    // 0000000044AC: D1000004 00E21508
	v_cmp_u_f32_e64 s[56:57], v33, v33                         // 0000000044B4: D0480038 00024321
	v_add3_u32 v8, v33, v11, 1                                 // 0000000044BC: D1FF0008 02061721
	v_cndmask_b32_e64 v5, v8, v10, s[56:57]                    // 0000000044C4: D1000005 00E21508
	v_perm_b32 v40, v5, v4, s35                                // 0000000044CC: D1ED0028 008E0905
	v_cmp_u_f32_e64 s[56:57], v34, v34                         // 0000000044D4: D0480038 00024522
	v_add3_u32 v8, v34, v11, 1                                 // 0000000044DC: D1FF0008 02061722
	v_cndmask_b32_e64 v4, v8, v10, s[56:57]                    // 0000000044E4: D1000004 00E21508
	v_cmp_u_f32_e64 s[56:57], v35, v35                         // 0000000044EC: D0480038 00024723
	v_add3_u32 v8, v35, v11, 1                                 // 0000000044F4: D1FF0008 02061723
	v_cndmask_b32_e64 v5, v8, v10, s[56:57]                    // 0000000044FC: D1000005 00E21508
	v_perm_b32 v41, v5, v4, s35                                // 000000004504: D1ED0029 008E0905
	v_cmp_u_f32_e64 s[56:57], v36, v36                         // 00000000450C: D0480038 00024924
	v_add3_u32 v8, v36, v11, 1                                 // 000000004514: D1FF0008 02061724
	v_cndmask_b32_e64 v4, v8, v10, s[56:57]                    // 00000000451C: D1000004 00E21508
	v_cmp_u_f32_e64 s[56:57], v37, v37                         // 000000004524: D0480038 00024B25
	v_add3_u32 v8, v37, v11, 1                                 // 00000000452C: D1FF0008 02061725
	v_cndmask_b32_e64 v5, v8, v10, s[56:57]                    // 000000004534: D1000005 00E21508
	v_perm_b32 v42, v5, v4, s35                                // 00000000453C: D1ED002A 008E0905
	v_cmp_u_f32_e64 s[56:57], v38, v38                         // 000000004544: D0480038 00024D26
	v_add3_u32 v8, v38, v11, 1                                 // 00000000454C: D1FF0008 02061726
	v_cndmask_b32_e64 v4, v8, v10, s[56:57]                    // 000000004554: D1000004 00E21508
	v_cmp_u_f32_e64 s[56:57], v39, v39                         // 00000000455C: D0480038 00024F27
	v_add3_u32 v8, v39, v11, 1                                 // 000000004564: D1FF0008 02061727
	v_cndmask_b32_e64 v5, v8, v10, s[56:57]                    // 00000000456C: D1000005 00E21508
	v_perm_b32 v43, v5, v4, s35                                // 000000004574: D1ED002B 008E0905
	ds_write_b64 v19, v[40:41]                                 // 00000000457C: D89A0000 00002813
	ds_write_b64 v19, v[42:43] offset:2176                     // 000000004584: D89A0880 00002A13
	s_waitcnt lgkmcnt(0)                                       // 00000000458C: BF8CC07F
	s_barrier                                                  // 000000004590: BF8A0000
	ds_read_b32 v40, v28                                       // 000000004594: D86C0000 2800001C
	ds_read_b32 v41, v28 offset:64                             // 00000000459C: D86C0040 2900001C
	ds_read_b32 v42, v28 offset:2176                           // 0000000045A4: D86C0880 2A00001C
	ds_read_b32 v43, v28 offset:2240                           // 0000000045AC: D86C08C0 2B00001C
	s_waitcnt lgkmcnt(0)                                       // 0000000045B4: BF8CC07F
	s_mul_i32 s31, s30, 8                                      // 0000000045B8: 921F881E
	v_mov_b32_e32 v4, v14                                      // 0000000045BC: 7E08030E
	global_atomic_pk_add_bf16 v4, v40, s[16:17]                // 0000000045C0: DD488000 00102804
	v_add_u32_e64 v4, v4, s31                                  // 0000000045C8: D1340004 00003F04
	global_atomic_pk_add_bf16 v4, v41, s[16:17]                // 0000000045D0: DD488000 00102904
	v_add_u32_e64 v4, v4, s31                                  // 0000000045D8: D1340004 00003F04
	global_atomic_pk_add_bf16 v4, v42, s[16:17]                // 0000000045E0: DD488000 00102A04
	v_add_u32_e64 v4, v4, s31                                  // 0000000045E8: D1340004 00003F04
	global_atomic_pk_add_bf16 v4, v43, s[16:17]                // 0000000045F0: DD488000 00102B04
	v_add_u32_e64 v4, v4, s31                                  // 0000000045F8: D1340004 00003F04
	s_branch label_08B1                                        // 000000004600: BF820170

0000000000004604 <label_0741>:
	v_mov_b32_e32 v5, 0                                        // 000000004604: 7E0A0280
	s_and_b32 s17, s17, 0xffff                                 // 000000004608: 8611FF11 0000FFFF
	s_cmp_lt_u32 s50, 1                                        // 000000004610: BF0A8132
	s_cbranch_scc0 label_07B3                                  // 000000004614: BF84006D
	v_lshrrev_b32_e32 v4, 4, v0                                // 000000004618: 20080084
	v_mul_u32_u24_e32 v19, 0x44, v4                            // 00000000461C: 102608FF 00000044
	v_and_b32_e32 v4, 15, v0                                   // 000000004624: 2608008F
	v_mul_lo_u32 v5, 4, v4                                     // 000000004628: D2850005 00020884
	v_add_u32_e32 v19, v5, v19                                 // 000000004630: 68262705
	s_mul_i32 s31, s24, 0x110                                  // 000000004634: 921FFF18 00000110
	v_add_u32_e32 v19, s31, v19                                // 00000000463C: 6826261F
	v_lshlrev_b32_e32 v19, 2, v19                              // 000000004640: 24262682
	v_lshrrev_b32_e32 v4, 2, v0                                // 000000004644: 20080082
	v_mul_u32_u24_e32 v28, 0x44, v4                            // 000000004648: 103808FF 00000044
	v_and_b32_e32 v4, 3, v0                                    // 000000004650: 26080083
	v_add_u32_e32 v28, v4, v28                                 // 000000004654: 68383904
	s_mul_i32 s31, s24, 4                                      // 000000004658: 921F8418
	v_add_u32_e32 v28, s31, v28                                // 00000000465C: 6838381F
	v_lshlrev_b32_e32 v28, 2, v28                              // 000000004660: 24383882
	s_lshr_b32 s31, s51, 2                                     // 000000004664: 8F1F8233
	s_and_b32 s32, s51, 3                                      // 000000004668: 86208333
	s_cmp_lt_u32 s24, s32                                      // 00000000466C: BF0A2018
	s_cselect_b32 s32, 1, 0                                    // 000000004670: 85208081
	s_add_u32 s51, s31, s32                                    // 000000004674: 8033201F
	s_mov_b32 s33, 0                                           // 000000004678: BEA10080
	s_waitcnt vmcnt(0) expcnt(0) lgkmcnt(0)                    // 00000000467C: BF8C0000
	s_barrier                                                  // 000000004680: BF8A0000
	ds_write_b128 v19, v[32:35]                                // 000000004684: D9BE0000 00002013
	ds_write_b128 v19, v[36:39] offset:4352                    // 00000000468C: D9BE1100 00002413
	s_waitcnt lgkmcnt(0)                                       // 000000004694: BF8CC07F
	s_barrier                                                  // 000000004698: BF8A0000
	ds_read_b32 v32, v28                                       // 00000000469C: D86C0000 2000001C
	ds_read_b32 v33, v28 offset:64                             // 0000000046A4: D86C0040 2100001C
	ds_read_b32 v34, v28 offset:128                            // 0000000046AC: D86C0080 2200001C
	ds_read_b32 v35, v28 offset:192                            // 0000000046B4: D86C00C0 2300001C
	ds_read_b32 v36, v28 offset:4352                           // 0000000046BC: D86C1100 2400001C
	ds_read_b32 v37, v28 offset:4416                           // 0000000046C4: D86C1140 2500001C
	ds_read_b32 v38, v28 offset:4480                           // 0000000046CC: D86C1180 2600001C
	ds_read_b32 v39, v28 offset:4544                           // 0000000046D4: D86C11C0 2700001C
	s_waitcnt lgkmcnt(0)                                       // 0000000046DC: BF8CC07F
	s_mul_i32 s31, s30, 4                                      // 0000000046E0: 921F841E
	v_mov_b32_e32 v4, v14                                      // 0000000046E4: 7E08030E
	s_cmp_lt_i32 s33, s51                                      // 0000000046E8: BF043321
	s_cbranch_scc0 label_08B1                                  // 0000000046EC: BF840135
	global_atomic_add_f32 v4, v32, s[16:17]                    // 0000000046F0: DD348000 00102004
	v_add_u32_e64 v4, v4, s31                                  // 0000000046F8: D1340004 00003F04
	s_addk_i32 s33, 0x1                                        // 000000004700: B7210001
	s_cmp_lt_i32 s33, s51                                      // 000000004704: BF043321
	s_cbranch_scc0 label_08B1                                  // 000000004708: BF84012E
	global_atomic_add_f32 v4, v33, s[16:17]                    // 00000000470C: DD348000 00102104
	v_add_u32_e64 v4, v4, s31                                  // 000000004714: D1340004 00003F04
	s_addk_i32 s33, 0x1                                        // 00000000471C: B7210001
	s_cmp_lt_i32 s33, s51                                      // 000000004720: BF043321
	s_cbranch_scc0 label_08B1                                  // 000000004724: BF840127
	global_atomic_add_f32 v4, v34, s[16:17]                    // 000000004728: DD348000 00102204
	v_add_u32_e64 v4, v4, s31                                  // 000000004730: D1340004 00003F04
	s_addk_i32 s33, 0x1                                        // 000000004738: B7210001
	s_cmp_lt_i32 s33, s51                                      // 00000000473C: BF043321
	s_cbranch_scc0 label_08B1                                  // 000000004740: BF840120
	global_atomic_add_f32 v4, v35, s[16:17]                    // 000000004744: DD348000 00102304
	v_add_u32_e64 v4, v4, s31                                  // 00000000474C: D1340004 00003F04
	s_addk_i32 s33, 0x1                                        // 000000004754: B7210001
	s_cmp_lt_i32 s33, s51                                      // 000000004758: BF043321
	s_cbranch_scc0 label_08B1                                  // 00000000475C: BF840119
	global_atomic_add_f32 v4, v36, s[16:17]                    // 000000004760: DD348000 00102404
	v_add_u32_e64 v4, v4, s31                                  // 000000004768: D1340004 00003F04
	s_addk_i32 s33, 0x1                                        // 000000004770: B7210001
	s_cmp_lt_i32 s33, s51                                      // 000000004774: BF043321
	s_cbranch_scc0 label_08B1                                  // 000000004778: BF840112
	global_atomic_add_f32 v4, v37, s[16:17]                    // 00000000477C: DD348000 00102504
	v_add_u32_e64 v4, v4, s31                                  // 000000004784: D1340004 00003F04
	s_addk_i32 s33, 0x1                                        // 00000000478C: B7210001
	s_cmp_lt_i32 s33, s51                                      // 000000004790: BF043321
	s_cbranch_scc0 label_08B1                                  // 000000004794: BF84010B
	global_atomic_add_f32 v4, v38, s[16:17]                    // 000000004798: DD348000 00102604
	v_add_u32_e64 v4, v4, s31                                  // 0000000047A0: D1340004 00003F04
	s_addk_i32 s33, 0x1                                        // 0000000047A8: B7210001
	s_cmp_lt_i32 s33, s51                                      // 0000000047AC: BF043321
	s_cbranch_scc0 label_08B1                                  // 0000000047B0: BF840104
	global_atomic_add_f32 v4, v39, s[16:17]                    // 0000000047B4: DD348000 00102704
	v_add_u32_e64 v4, v4, s31                                  // 0000000047BC: D1340004 00003F04
	s_addk_i32 s33, 0x1                                        // 0000000047C4: B7210001
	s_branch label_08B1                                        // 0000000047C8: BF8200FE

00000000000047cc <label_07B3>:
	v_lshrrev_b32_e32 v4, 4, v0                                // 0000000047CC: 20080084
	v_mul_u32_u24_e32 v19, 34, v4                              // 0000000047D0: 102608A2
	v_and_b32_e32 v4, 15, v0                                   // 0000000047D4: 2608008F
	v_mul_lo_u32 v5, 2, v4                                     // 0000000047D8: D2850005 00020882
	v_add_u32_e32 v19, v5, v19                                 // 0000000047E0: 68262705
	s_mul_i32 s31, s24, 0x88                                   // 0000000047E4: 921FFF18 00000088
	v_add_u32_e32 v19, s31, v19                                // 0000000047EC: 6826261F
	v_lshlrev_b32_e32 v19, 2, v19                              // 0000000047F0: 24262682
	v_and_b32_e32 v4, 31, v0                                   // 0000000047F4: 2608009F
	v_lshrrev_b32_e32 v5, 1, v4                                // 0000000047F8: 200A0881
	v_mul_u32_u24_e32 v28, 34, v5                              // 0000000047FC: 10380AA2
	v_and_b32_e32 v5, 1, v4                                    // 000000004800: 260A0881
	v_add_u32_e32 v28, v5, v28                                 // 000000004804: 68383905
	v_lshrrev_b32_e32 v4, 5, v0                                // 000000004808: 20080085
	v_mul_u32_u24_e32 v4, 8, v4                                // 00000000480C: 10080888
	v_add_u32_e32 v28, v4, v28                                 // 000000004810: 68383904
	s_mul_i32 s31, s24, 2                                      // 000000004814: 921F8218
	v_add_u32_e32 v28, s31, v28                                // 000000004818: 6838381F
	v_lshlrev_b32_e32 v28, 2, v28                              // 00000000481C: 24383882
	s_lshr_b32 s31, s51, 2                                     // 000000004820: 8F1F8233
	s_and_b32 s32, s51, 3                                      // 000000004824: 86208333
	s_cmp_lt_u32 s24, s32                                      // 000000004828: BF0A2018
	s_cselect_b32 s32, 1, 0                                    // 00000000482C: 85208081
	s_add_u32 s51, s31, s32                                    // 000000004830: 8033201F
	s_mov_b32 s33, 0                                           // 000000004834: BEA10080
	s_waitcnt vmcnt(0) expcnt(0) lgkmcnt(0)                    // 000000004838: BF8C0000
	s_barrier                                                  // 00000000483C: BF8A0000
	v_cmp_u_f32_e64 s[56:57], v32, v32                         // 000000004840: D0480038 00024120
	v_add3_u32 v8, v32, v11, 1                                 // 000000004848: D1FF0008 02061720
	v_cndmask_b32_e64 v4, v8, v10, s[56:57]                    // 000000004850: D1000004 00E21508
	v_cmp_u_f32_e64 s[56:57], v33, v33                         // 000000004858: D0480038 00024321
	v_add3_u32 v8, v33, v11, 1                                 // 000000004860: D1FF0008 02061721
	v_cndmask_b32_e64 v5, v8, v10, s[56:57]                    // 000000004868: D1000005 00E21508
	v_perm_b32 v40, v5, v4, s35                                // 000000004870: D1ED0028 008E0905
	v_cmp_u_f32_e64 s[56:57], v34, v34                         // 000000004878: D0480038 00024522
	v_add3_u32 v8, v34, v11, 1                                 // 000000004880: D1FF0008 02061722
	v_cndmask_b32_e64 v4, v8, v10, s[56:57]                    // 000000004888: D1000004 00E21508
	v_cmp_u_f32_e64 s[56:57], v35, v35                         // 000000004890: D0480038 00024723
	v_add3_u32 v8, v35, v11, 1                                 // 000000004898: D1FF0008 02061723
	v_cndmask_b32_e64 v5, v8, v10, s[56:57]                    // 0000000048A0: D1000005 00E21508
	v_perm_b32 v41, v5, v4, s35                                // 0000000048A8: D1ED0029 008E0905
	v_cmp_u_f32_e64 s[56:57], v36, v36                         // 0000000048B0: D0480038 00024924
	v_add3_u32 v8, v36, v11, 1                                 // 0000000048B8: D1FF0008 02061724
	v_cndmask_b32_e64 v4, v8, v10, s[56:57]                    // 0000000048C0: D1000004 00E21508
	v_cmp_u_f32_e64 s[56:57], v37, v37                         // 0000000048C8: D0480038 00024B25
	v_add3_u32 v8, v37, v11, 1                                 // 0000000048D0: D1FF0008 02061725
	v_cndmask_b32_e64 v5, v8, v10, s[56:57]                    // 0000000048D8: D1000005 00E21508
	v_perm_b32 v42, v5, v4, s35                                // 0000000048E0: D1ED002A 008E0905
	v_cmp_u_f32_e64 s[56:57], v38, v38                         // 0000000048E8: D0480038 00024D26
	v_add3_u32 v8, v38, v11, 1                                 // 0000000048F0: D1FF0008 02061726
	v_cndmask_b32_e64 v4, v8, v10, s[56:57]                    // 0000000048F8: D1000004 00E21508
	v_cmp_u_f32_e64 s[56:57], v39, v39                         // 000000004900: D0480038 00024F27
	v_add3_u32 v8, v39, v11, 1                                 // 000000004908: D1FF0008 02061727
	v_cndmask_b32_e64 v5, v8, v10, s[56:57]                    // 000000004910: D1000005 00E21508
	v_perm_b32 v43, v5, v4, s35                                // 000000004918: D1ED002B 008E0905
	ds_write_b64 v19, v[40:41]                                 // 000000004920: D89A0000 00002813
	ds_write_b64 v19, v[42:43] offset:2176                     // 000000004928: D89A0880 00002A13
	s_waitcnt lgkmcnt(0)                                       // 000000004930: BF8CC07F
	s_barrier                                                  // 000000004934: BF8A0000
	ds_read_b32 v40, v28                                       // 000000004938: D86C0000 2800001C
	ds_read_b32 v41, v28 offset:64                             // 000000004940: D86C0040 2900001C
	ds_read_b32 v42, v28 offset:2176                           // 000000004948: D86C0880 2A00001C
	ds_read_b32 v43, v28 offset:2240                           // 000000004950: D86C08C0 2B00001C
	s_waitcnt lgkmcnt(0)                                       // 000000004958: BF8CC07F
	s_mul_i32 s31, s30, 8                                      // 00000000495C: 921F881E
	v_mov_b32_e32 v4, v14                                      // 000000004960: 7E08030E
	s_cmp_lt_i32 s33, s51                                      // 000000004964: BF043321
	s_cbranch_scc0 label_08B1                                  // 000000004968: BF840096
	s_mov_b32 s54, -1                                          // 00000000496C: BEB600C1
	s_mov_b32 s55, 0                                           // 000000004970: BEB70080
	s_mov_b64 exec, s[54:55]                                   // 000000004974: BEFE0136
	global_atomic_pk_add_bf16 v4, v40, s[16:17]                // 000000004978: DD488000 00102804
	s_addk_i32 s33, 0x1                                        // 000000004980: B7210001
	s_cmp_lt_i32 s33, s51                                      // 000000004984: BF043321
	s_cbranch_scc0 label_08B1                                  // 000000004988: BF84008E
	s_mov_b32 s54, 0                                           // 00000000498C: BEB60080
	s_mov_b32 s55, -1                                          // 000000004990: BEB700C1
	s_mov_b64 exec, s[54:55]                                   // 000000004994: BEFE0136
	global_atomic_pk_add_bf16 v4, v40, s[16:17]                // 000000004998: DD488000 00102804
	s_addk_i32 s33, 0x1                                        // 0000000049A0: B7210001
	s_mov_b32 s54, -1                                          // 0000000049A4: BEB600C1
	s_mov_b32 s55, -1                                          // 0000000049A8: BEB700C1
	s_mov_b64 exec, s[54:55]                                   // 0000000049AC: BEFE0136
	v_add_u32_e64 v4, v4, s31                                  // 0000000049B0: D1340004 00003F04
	s_cmp_lt_i32 s33, s51                                      // 0000000049B8: BF043321
	s_cbranch_scc0 label_08B1                                  // 0000000049BC: BF840081
	s_mov_b32 s54, -1                                          // 0000000049C0: BEB600C1
	s_mov_b32 s55, 0                                           // 0000000049C4: BEB70080
	s_mov_b64 exec, s[54:55]                                   // 0000000049C8: BEFE0136
	global_atomic_pk_add_bf16 v4, v41, s[16:17]                // 0000000049CC: DD488000 00102904
	s_addk_i32 s33, 0x1                                        // 0000000049D4: B7210001
	s_cmp_lt_i32 s33, s51                                      // 0000000049D8: BF043321
	s_cbranch_scc0 label_08B1                                  // 0000000049DC: BF840079
	s_mov_b32 s54, 0                                           // 0000000049E0: BEB60080
	s_mov_b32 s55, -1                                          // 0000000049E4: BEB700C1
	s_mov_b64 exec, s[54:55]                                   // 0000000049E8: BEFE0136
	global_atomic_pk_add_bf16 v4, v41, s[16:17]                // 0000000049EC: DD488000 00102904
	s_addk_i32 s33, 0x1                                        // 0000000049F4: B7210001
	s_mov_b32 s54, -1                                          // 0000000049F8: BEB600C1
	s_mov_b32 s55, -1                                          // 0000000049FC: BEB700C1
	s_mov_b64 exec, s[54:55]                                   // 000000004A00: BEFE0136
	v_add_u32_e64 v4, v4, s31                                  // 000000004A04: D1340004 00003F04
	s_cmp_lt_i32 s33, s51                                      // 000000004A0C: BF043321
	s_cbranch_scc0 label_08B1                                  // 000000004A10: BF84006C
	s_mov_b32 s54, -1                                          // 000000004A14: BEB600C1
	s_mov_b32 s55, 0                                           // 000000004A18: BEB70080
	s_mov_b64 exec, s[54:55]                                   // 000000004A1C: BEFE0136
	global_atomic_pk_add_bf16 v4, v42, s[16:17]                // 000000004A20: DD488000 00102A04
	s_addk_i32 s33, 0x1                                        // 000000004A28: B7210001
	s_cmp_lt_i32 s33, s51                                      // 000000004A2C: BF043321
	s_cbranch_scc0 label_08B1                                  // 000000004A30: BF840064
	s_mov_b32 s54, 0                                           // 000000004A34: BEB60080
	s_mov_b32 s55, -1                                          // 000000004A38: BEB700C1
	s_mov_b64 exec, s[54:55]                                   // 000000004A3C: BEFE0136
	global_atomic_pk_add_bf16 v4, v42, s[16:17]                // 000000004A40: DD488000 00102A04
	s_addk_i32 s33, 0x1                                        // 000000004A48: B7210001
	s_mov_b32 s54, -1                                          // 000000004A4C: BEB600C1
	s_mov_b32 s55, -1                                          // 000000004A50: BEB700C1
	s_mov_b64 exec, s[54:55]                                   // 000000004A54: BEFE0136
	v_add_u32_e64 v4, v4, s31                                  // 000000004A58: D1340004 00003F04
	s_cmp_lt_i32 s33, s51                                      // 000000004A60: BF043321
	s_cbranch_scc0 label_08B1                                  // 000000004A64: BF840057
	s_mov_b32 s54, -1                                          // 000000004A68: BEB600C1
	s_mov_b32 s55, 0                                           // 000000004A6C: BEB70080
	s_mov_b64 exec, s[54:55]                                   // 000000004A70: BEFE0136
	global_atomic_pk_add_bf16 v4, v43, s[16:17]                // 000000004A74: DD488000 00102B04
	s_addk_i32 s33, 0x1                                        // 000000004A7C: B7210001
	s_cmp_lt_i32 s33, s51                                      // 000000004A80: BF043321
	s_cbranch_scc0 label_08B1                                  // 000000004A84: BF84004F
	s_mov_b32 s54, 0                                           // 000000004A88: BEB60080
	s_mov_b32 s55, -1                                          // 000000004A8C: BEB700C1
	s_mov_b64 exec, s[54:55]                                   // 000000004A90: BEFE0136
	global_atomic_pk_add_bf16 v4, v43, s[16:17]                // 000000004A94: DD488000 00102B04
	s_addk_i32 s33, 0x1                                        // 000000004A9C: B7210001
	s_mov_b32 s54, -1                                          // 000000004AA0: BEB600C1
	s_mov_b32 s55, -1                                          // 000000004AA4: BEB700C1
	s_mov_b64 exec, s[54:55]                                   // 000000004AA8: BEFE0136
	v_add_u32_e64 v4, v4, s31                                  // 000000004AAC: D1340004 00003F04
	s_branch label_08B1                                        // 000000004AB4: BF820043

0000000000004ab8 <label_086E>:
	s_cmp_lt_u32 s50, 1                                        // 000000004AB8: BF0A8132
	s_cbranch_scc0 label_0875                                  // 000000004ABC: BF840005
	buffer_store_dwordx4 v[32:35], v12, s[16:19], 0 offen      // 000000004AC0: E07C1000 8004200C
	buffer_store_dwordx4 v[36:39], v13, s[16:19], 0 offen      // 000000004AC8: E07C1000 8004240D
	s_branch label_08B1                                        // 000000004AD0: BF82003C

0000000000004ad4 <label_0875>:
	v_cmp_u_f32_e64 s[56:57], v32, v32                         // 000000004AD4: D0480038 00024120
	v_add3_u32 v8, v32, v11, 1                                 // 000000004ADC: D1FF0008 02061720
	v_cndmask_b32_e64 v4, v8, v10, s[56:57]                    // 000000004AE4: D1000004 00E21508
	v_cmp_u_f32_e64 s[56:57], v33, v33                         // 000000004AEC: D0480038 00024321
	v_add3_u32 v8, v33, v11, 1                                 // 000000004AF4: D1FF0008 02061721
	v_cndmask_b32_e64 v5, v8, v10, s[56:57]                    // 000000004AFC: D1000005 00E21508
	v_perm_b32 v40, v5, v4, s35                                // 000000004B04: D1ED0028 008E0905
	v_cmp_u_f32_e64 s[56:57], v34, v34                         // 000000004B0C: D0480038 00024522
	v_add3_u32 v8, v34, v11, 1                                 // 000000004B14: D1FF0008 02061722
	v_cndmask_b32_e64 v4, v8, v10, s[56:57]                    // 000000004B1C: D1000004 00E21508
	v_cmp_u_f32_e64 s[56:57], v35, v35                         // 000000004B24: D0480038 00024723
	v_add3_u32 v8, v35, v11, 1                                 // 000000004B2C: D1FF0008 02061723
	v_cndmask_b32_e64 v5, v8, v10, s[56:57]                    // 000000004B34: D1000005 00E21508
	v_perm_b32 v41, v5, v4, s35                                // 000000004B3C: D1ED0029 008E0905
	buffer_store_dwordx2 v[40:41], v12, s[16:19], 0 offen      // 000000004B44: E0741000 8004280C
	v_cmp_u_f32_e64 s[56:57], v36, v36                         // 000000004B4C: D0480038 00024924
	v_add3_u32 v8, v36, v11, 1                                 // 000000004B54: D1FF0008 02061724
	v_cndmask_b32_e64 v4, v8, v10, s[56:57]                    // 000000004B5C: D1000004 00E21508
	v_cmp_u_f32_e64 s[56:57], v37, v37                         // 000000004B64: D0480038 00024B25
	v_add3_u32 v8, v37, v11, 1                                 // 000000004B6C: D1FF0008 02061725
	v_cndmask_b32_e64 v5, v8, v10, s[56:57]                    // 000000004B74: D1000005 00E21508
	v_perm_b32 v42, v5, v4, s35                                // 000000004B7C: D1ED002A 008E0905
	v_cmp_u_f32_e64 s[56:57], v38, v38                         // 000000004B84: D0480038 00024D26
	v_add3_u32 v8, v38, v11, 1                                 // 000000004B8C: D1FF0008 02061726
	v_cndmask_b32_e64 v4, v8, v10, s[56:57]                    // 000000004B94: D1000004 00E21508
	v_cmp_u_f32_e64 s[56:57], v39, v39                         // 000000004B9C: D0480038 00024F27
	v_add3_u32 v8, v39, v11, 1                                 // 000000004BA4: D1FF0008 02061727
	v_cndmask_b32_e64 v5, v8, v10, s[56:57]                    // 000000004BAC: D1000005 00E21508
	v_perm_b32 v43, v5, v4, s35                                // 000000004BB4: D1ED002B 008E0905
	buffer_store_dwordx2 v[42:43], v13, s[16:19], 0 offen      // 000000004BBC: E0741000 80042A0D

0000000000004bc4 <label_08B1>:
	s_waitcnt vmcnt(0) expcnt(0) lgkmcnt(0)                    // 000000004BC4: BF8C0000
	s_endpgm                                                   // 000000004BC8: BF810000
